;; amdgpu-corpus repo=ROCm/rocFFT kind=compiled arch=gfx906 opt=O3
	.text
	.amdgcn_target "amdgcn-amd-amdhsa--gfx906"
	.amdhsa_code_object_version 6
	.protected	bluestein_single_fwd_len1001_dim1_half_op_CI_CI ; -- Begin function bluestein_single_fwd_len1001_dim1_half_op_CI_CI
	.globl	bluestein_single_fwd_len1001_dim1_half_op_CI_CI
	.p2align	8
	.type	bluestein_single_fwd_len1001_dim1_half_op_CI_CI,@function
bluestein_single_fwd_len1001_dim1_half_op_CI_CI: ; @bluestein_single_fwd_len1001_dim1_half_op_CI_CI
; %bb.0:
	s_load_dwordx4 s[0:3], s[4:5], 0x28
	v_mul_u32_u24_e32 v1, 0x2d1, v0
	v_lshrrev_b32_e32 v1, 16, v1
	v_lshl_add_u32 v16, s6, 1, v1
	v_mov_b32_e32 v17, 0
	s_waitcnt lgkmcnt(0)
	v_cmp_gt_u64_e32 vcc, s[0:1], v[16:17]
	s_and_saveexec_b64 s[0:1], vcc
	s_cbranch_execz .LBB0_23
; %bb.1:
	s_load_dwordx2 s[6:7], s[4:5], 0x0
	s_load_dwordx2 s[12:13], s[4:5], 0x38
	v_mul_lo_u16_e32 v2, 0x5b, v1
	v_sub_u16_e32 v42, v0, v2
	v_and_b32_e32 v0, 1, v1
	v_mov_b32_e32 v1, 0x3e9
	v_cmp_eq_u32_e32 vcc, 1, v0
	v_cndmask_b32_e32 v27, 0, v1, vcc
	s_movk_i32 s0, 0x4d
	v_cmp_gt_u16_e32 vcc, s0, v42
	v_lshlrev_b32_e32 v41, 2, v42
	v_lshlrev_b32_e32 v43, 2, v27
	s_and_saveexec_b64 s[8:9], vcc
	s_cbranch_execz .LBB0_3
; %bb.2:
	s_load_dwordx2 s[0:1], s[4:5], 0x18
	s_waitcnt lgkmcnt(0)
	s_load_dwordx4 s[16:19], s[0:1], 0x0
	s_waitcnt lgkmcnt(0)
	v_mad_u64_u32 v[0:1], s[0:1], s18, v16, 0
	v_mad_u64_u32 v[2:3], s[0:1], s16, v42, 0
	v_mad_u64_u32 v[4:5], s[0:1], s19, v16, v[1:2]
	v_mad_u64_u32 v[5:6], s[0:1], s17, v42, v[3:4]
	v_mov_b32_e32 v1, v4
	v_lshlrev_b64 v[0:1], 2, v[0:1]
	v_mov_b32_e32 v3, v5
	v_mov_b32_e32 v6, s3
	v_lshlrev_b64 v[2:3], 2, v[2:3]
	v_add_co_u32_e64 v0, s[0:1], s2, v0
	v_addc_co_u32_e64 v1, s[0:1], v6, v1, s[0:1]
	v_add_co_u32_e64 v0, s[0:1], v0, v2
	v_addc_co_u32_e64 v1, s[0:1], v1, v3, s[0:1]
	global_load_dword v2, v[0:1], off
	global_load_dword v3, v41, s[6:7]
	s_mul_i32 s0, s17, 0x134
	s_mul_hi_u32 s3, s16, 0x134
	s_mul_i32 s2, s16, 0x134
	s_add_i32 s3, s3, s0
	v_mov_b32_e32 v5, s3
	v_add_co_u32_e64 v0, s[0:1], s2, v0
	v_addc_co_u32_e64 v1, s[0:1], v1, v5, s[0:1]
	global_load_dword v5, v[0:1], off
	global_load_dword v6, v41, s[6:7] offset:308
	global_load_dword v7, v41, s[6:7] offset:616
	;; [unrolled: 1-line block ×7, first 2 shown]
	v_mov_b32_e32 v13, s3
	v_add_co_u32_e64 v0, s[0:1], s2, v0
	v_addc_co_u32_e64 v1, s[0:1], v1, v13, s[0:1]
	global_load_dword v13, v[0:1], off
	v_mov_b32_e32 v14, s3
	v_add_co_u32_e64 v0, s[0:1], s2, v0
	v_addc_co_u32_e64 v1, s[0:1], v1, v14, s[0:1]
	global_load_dword v14, v[0:1], off
	;; [unrolled: 4-line block ×3, first 2 shown]
	global_load_dword v17, v41, s[6:7] offset:2464
	global_load_dword v18, v41, s[6:7] offset:2772
	;; [unrolled: 1-line block ×3, first 2 shown]
	v_mov_b32_e32 v20, s3
	v_add_co_u32_e64 v0, s[0:1], s2, v0
	v_addc_co_u32_e64 v1, s[0:1], v1, v20, s[0:1]
	global_load_dword v20, v[0:1], off
	v_mov_b32_e32 v21, s3
	v_add_co_u32_e64 v0, s[0:1], s2, v0
	v_addc_co_u32_e64 v1, s[0:1], v1, v21, s[0:1]
	global_load_dword v21, v[0:1], off
	;; [unrolled: 4-line block ×6, first 2 shown]
	v_add_co_u32_e64 v0, s[0:1], s2, v0
	v_lshl_add_u32 v4, v42, 2, v43
	s_waitcnt vmcnt(21)
	v_lshrrev_b32_e32 v26, 16, v2
	s_waitcnt vmcnt(20)
	v_mul_f16_sdwa v28, v3, v2 dst_sel:DWORD dst_unused:UNUSED_PAD src0_sel:WORD_1 src1_sel:DWORD
	v_mul_f16_sdwa v29, v3, v26 dst_sel:DWORD dst_unused:UNUSED_PAD src0_sel:WORD_1 src1_sel:DWORD
	v_fma_f16 v26, v3, v26, -v28
	v_fma_f16 v2, v3, v2, v29
	v_mov_b32_e32 v3, s3
	v_addc_co_u32_e64 v1, s[0:1], v1, v3, s[0:1]
	global_load_dword v3, v[0:1], off
	global_load_dword v28, v41, s[6:7] offset:3388
	v_mov_b32_e32 v29, s3
	v_add_co_u32_e64 v0, s[0:1], s2, v0
	v_addc_co_u32_e64 v1, s[0:1], v1, v29, s[0:1]
	global_load_dword v29, v[0:1], off
	global_load_dword v30, v41, s[6:7] offset:3696
	v_pack_b32_f16 v0, v2, v26
	ds_write_b32 v4, v0
	s_waitcnt vmcnt(23)
	v_lshrrev_b32_e32 v0, 16, v5
	s_waitcnt vmcnt(22)
	v_mul_f16_sdwa v1, v6, v0 dst_sel:DWORD dst_unused:UNUSED_PAD src0_sel:WORD_1 src1_sel:DWORD
	v_mul_f16_sdwa v4, v6, v5 dst_sel:DWORD dst_unused:UNUSED_PAD src0_sel:WORD_1 src1_sel:DWORD
	v_fma_f16 v1, v6, v5, v1
	v_fma_f16 v0, v6, v0, -v4
	v_pack_b32_f16 v0, v1, v0
	s_waitcnt vmcnt(15)
	v_lshrrev_b32_e32 v1, 16, v13
	v_mul_f16_sdwa v4, v7, v1 dst_sel:DWORD dst_unused:UNUSED_PAD src0_sel:WORD_1 src1_sel:DWORD
	v_mul_f16_sdwa v5, v7, v13 dst_sel:DWORD dst_unused:UNUSED_PAD src0_sel:WORD_1 src1_sel:DWORD
	v_fma_f16 v4, v7, v13, v4
	v_fma_f16 v1, v7, v1, -v5
	v_add_u32_e32 v2, v43, v41
	v_pack_b32_f16 v1, v4, v1
	ds_write2_b32 v2, v0, v1 offset0:77 offset1:154
	s_waitcnt vmcnt(14)
	v_lshrrev_b32_e32 v0, 16, v14
	v_mul_f16_sdwa v1, v8, v0 dst_sel:DWORD dst_unused:UNUSED_PAD src0_sel:WORD_1 src1_sel:DWORD
	v_mul_f16_sdwa v4, v8, v14 dst_sel:DWORD dst_unused:UNUSED_PAD src0_sel:WORD_1 src1_sel:DWORD
	v_fma_f16 v1, v8, v14, v1
	v_fma_f16 v0, v8, v0, -v4
	v_pack_b32_f16 v0, v1, v0
	s_waitcnt vmcnt(13)
	v_lshrrev_b32_e32 v1, 16, v15
	v_mul_f16_sdwa v4, v9, v1 dst_sel:DWORD dst_unused:UNUSED_PAD src0_sel:WORD_1 src1_sel:DWORD
	v_mul_f16_sdwa v5, v9, v15 dst_sel:DWORD dst_unused:UNUSED_PAD src0_sel:WORD_1 src1_sel:DWORD
	v_fma_f16 v4, v9, v15, v4
	v_fma_f16 v1, v9, v1, -v5
	v_pack_b32_f16 v1, v4, v1
	v_add_u32_e32 v4, 0x200, v2
	ds_write2_b32 v4, v0, v1 offset0:103 offset1:180
	s_waitcnt vmcnt(9)
	v_lshrrev_b32_e32 v0, 16, v20
	v_mul_f16_sdwa v1, v10, v0 dst_sel:DWORD dst_unused:UNUSED_PAD src0_sel:WORD_1 src1_sel:DWORD
	v_mul_f16_sdwa v4, v10, v20 dst_sel:DWORD dst_unused:UNUSED_PAD src0_sel:WORD_1 src1_sel:DWORD
	v_fma_f16 v1, v10, v20, v1
	v_fma_f16 v0, v10, v0, -v4
	v_pack_b32_f16 v0, v1, v0
	s_waitcnt vmcnt(8)
	v_lshrrev_b32_e32 v1, 16, v21
	v_mul_f16_sdwa v4, v11, v1 dst_sel:DWORD dst_unused:UNUSED_PAD src0_sel:WORD_1 src1_sel:DWORD
	v_mul_f16_sdwa v5, v11, v21 dst_sel:DWORD dst_unused:UNUSED_PAD src0_sel:WORD_1 src1_sel:DWORD
	v_fma_f16 v4, v11, v21, v4
	v_fma_f16 v1, v11, v1, -v5
	v_pack_b32_f16 v1, v4, v1
	v_add_u32_e32 v4, 0x400, v2
	ds_write2_b32 v4, v0, v1 offset0:129 offset1:206
	s_waitcnt vmcnt(7)
	v_lshrrev_b32_e32 v0, 16, v22
	v_mul_f16_sdwa v1, v12, v0 dst_sel:DWORD dst_unused:UNUSED_PAD src0_sel:WORD_1 src1_sel:DWORD
	v_mul_f16_sdwa v4, v12, v22 dst_sel:DWORD dst_unused:UNUSED_PAD src0_sel:WORD_1 src1_sel:DWORD
	v_fma_f16 v1, v12, v22, v1
	v_fma_f16 v0, v12, v0, -v4
	v_pack_b32_f16 v0, v1, v0
	s_waitcnt vmcnt(6)
	v_lshrrev_b32_e32 v1, 16, v23
	v_mul_f16_sdwa v4, v17, v1 dst_sel:DWORD dst_unused:UNUSED_PAD src0_sel:WORD_1 src1_sel:DWORD
	v_mul_f16_sdwa v5, v17, v23 dst_sel:DWORD dst_unused:UNUSED_PAD src0_sel:WORD_1 src1_sel:DWORD
	v_fma_f16 v4, v17, v23, v4
	v_fma_f16 v1, v17, v1, -v5
	v_pack_b32_f16 v1, v4, v1
	v_add_u32_e32 v4, 0x800, v2
	ds_write2_b32 v4, v0, v1 offset0:27 offset1:104
	s_waitcnt vmcnt(5)
	v_lshrrev_b32_e32 v0, 16, v24
	v_mul_f16_sdwa v1, v18, v0 dst_sel:DWORD dst_unused:UNUSED_PAD src0_sel:WORD_1 src1_sel:DWORD
	v_mul_f16_sdwa v4, v18, v24 dst_sel:DWORD dst_unused:UNUSED_PAD src0_sel:WORD_1 src1_sel:DWORD
	v_fma_f16 v1, v18, v24, v1
	v_fma_f16 v0, v18, v0, -v4
	v_pack_b32_f16 v0, v1, v0
	s_waitcnt vmcnt(4)
	v_lshrrev_b32_e32 v1, 16, v25
	v_mul_f16_sdwa v4, v19, v1 dst_sel:DWORD dst_unused:UNUSED_PAD src0_sel:WORD_1 src1_sel:DWORD
	v_mul_f16_sdwa v5, v19, v25 dst_sel:DWORD dst_unused:UNUSED_PAD src0_sel:WORD_1 src1_sel:DWORD
	v_fma_f16 v4, v19, v25, v4
	v_fma_f16 v1, v19, v1, -v5
	v_pack_b32_f16 v1, v4, v1
	v_add_u32_e32 v4, 0xa00, v2
	ds_write2_b32 v4, v0, v1 offset0:53 offset1:130
	s_waitcnt vmcnt(3)
	v_lshrrev_b32_e32 v0, 16, v3
	s_waitcnt vmcnt(2)
	v_mul_f16_sdwa v1, v28, v0 dst_sel:DWORD dst_unused:UNUSED_PAD src0_sel:WORD_1 src1_sel:DWORD
	v_fma_f16 v1, v28, v3, v1
	v_mul_f16_sdwa v3, v28, v3 dst_sel:DWORD dst_unused:UNUSED_PAD src0_sel:WORD_1 src1_sel:DWORD
	v_fma_f16 v0, v28, v0, -v3
	v_pack_b32_f16 v0, v1, v0
	s_waitcnt vmcnt(1)
	v_lshrrev_b32_e32 v1, 16, v29
	s_waitcnt vmcnt(0)
	v_mul_f16_sdwa v3, v30, v1 dst_sel:DWORD dst_unused:UNUSED_PAD src0_sel:WORD_1 src1_sel:DWORD
	v_mul_f16_sdwa v4, v30, v29 dst_sel:DWORD dst_unused:UNUSED_PAD src0_sel:WORD_1 src1_sel:DWORD
	v_fma_f16 v3, v30, v29, v3
	v_fma_f16 v1, v30, v1, -v4
	v_pack_b32_f16 v1, v3, v1
	v_add_u32_e32 v2, 0xc00, v2
	ds_write2_b32 v2, v0, v1 offset0:79 offset1:156
.LBB0_3:
	s_or_b64 exec, exec, s[8:9]
	s_waitcnt lgkmcnt(0)
	s_barrier
	s_waitcnt lgkmcnt(0)
                                        ; implicit-def: $vgpr0
                                        ; implicit-def: $vgpr10
                                        ; implicit-def: $vgpr26
                                        ; implicit-def: $vgpr17
                                        ; implicit-def: $vgpr28
                                        ; implicit-def: $vgpr30
                                        ; implicit-def: $vgpr9
                                        ; implicit-def: $vgpr31
                                        ; implicit-def: $vgpr32
                                        ; implicit-def: $vgpr5
                                        ; implicit-def: $vgpr29
                                        ; implicit-def: $vgpr18
                                        ; implicit-def: $vgpr7
                                        ; implicit-def: $vgpr19
                                        ; implicit-def: $vgpr20
                                        ; implicit-def: $vgpr3
                                        ; implicit-def: $vgpr23
                                        ; implicit-def: $vgpr24
                                        ; implicit-def: $vgpr25
	s_and_saveexec_b64 s[0:1], vcc
	s_cbranch_execz .LBB0_5
; %bb.4:
	v_lshl_add_u32 v12, v27, 2, v41
	v_add_u32_e32 v4, 0x400, v12
	v_add_u32_e32 v5, 0x600, v12
	;; [unrolled: 1-line block ×4, first 2 shown]
	ds_read2_b32 v[0:1], v12 offset1:77
	ds_read2_b32 v[2:3], v12 offset0:154 offset1:231
	ds_read2_b32 v[6:7], v4 offset0:52 offset1:129
	;; [unrolled: 1-line block ×5, first 2 shown]
	ds_read_b32 v17, v12 offset:3696
	s_waitcnt lgkmcnt(6)
	v_lshrrev_b32_e32 v25, 16, v1
	s_waitcnt lgkmcnt(5)
	v_lshrrev_b32_e32 v24, 16, v2
	v_lshrrev_b32_e32 v23, 16, v3
	s_waitcnt lgkmcnt(4)
	v_lshrrev_b32_e32 v20, 16, v6
	;; [unrolled: 3-line block ×6, first 2 shown]
.LBB0_5:
	s_or_b64 exec, exec, s[0:1]
	v_sub_f16_e32 v12, v25, v28
	v_add_f16_e32 v47, v17, v1
	s_movk_i32 s0, 0x3b15
	v_mul_f16_e32 v33, 0xb770, v12
	v_sub_f16_e32 v34, v24, v30
	v_fma_f16 v13, v47, s0, v33
	s_movk_i32 s1, 0x388b
	v_mul_f16_e32 v35, 0xba95, v12
	v_add_f16_e32 v48, v11, v2
	v_mul_f16_e32 v36, 0xba95, v34
	v_add_f16_e32 v13, v13, v0
	v_fma_f16 v14, v47, s1, v35
	s_mov_b32 s2, 0xb5ac
	v_fma_f16 v15, v48, s1, v36
	v_mul_f16_e32 v37, 0xbb7b, v34
	v_sub_f16_e32 v46, v23, v26
	v_add_f16_e32 v14, v14, v0
	v_add_f16_e32 v13, v15, v13
	v_fma_f16 v15, v48, s2, v37
	s_movk_i32 s3, 0x2fb7
	v_add_f16_e32 v56, v10, v3
	v_mul_f16_e32 v38, 0xbbf1, v46
	v_add_f16_e32 v14, v15, v14
	v_fma_f16 v15, v56, s3, v38
	s_mov_b32 s8, 0xbbc4
	v_mul_f16_e32 v39, 0xb3a8, v46
	v_sub_f16_e32 v49, v20, v31
	v_add_f16_e32 v13, v15, v13
	v_fma_f16 v15, v56, s8, v39
	v_add_f16_e32 v57, v9, v6
	v_mul_f16_e32 v40, 0xbb7b, v49
	v_add_f16_e32 v14, v15, v14
	v_fma_f16 v15, v57, s2, v40
	s_mov_b32 s9, 0xb9fd
	v_mul_f16_e32 v44, 0x394e, v49
	v_sub_f16_e32 v50, v19, v32
	v_add_f16_e32 v13, v15, v13
	v_fma_f16 v15, v57, s9, v44
	v_add_f16_e32 v59, v8, v7
	v_mul_f16_e32 v45, 0xb94e, v50
	v_add_f16_e32 v14, v15, v14
	v_fma_f16 v15, v59, s9, v45
	v_mul_f16_e32 v54, 0x3bf1, v50
	v_sub_f16_e32 v51, v18, v29
	v_add_f16_e32 v13, v15, v13
	v_fma_f16 v15, v59, s3, v54
	v_add_f16_e32 v61, v5, v4
	v_mul_f16_e32 v55, 0xb3a8, v51
	v_add_f16_e32 v14, v15, v14
	v_fma_f16 v15, v61, s8, v55
	v_mul_f16_e32 v58, 0x3770, v51
	v_add_f16_e32 v15, v15, v13
	v_fma_f16 v13, v61, s0, v58
	;; [unrolled: 3-line block ×14, first 2 shown]
	v_mul_f16_e32 v89, 0xb94e, v12
	v_mul_f16_e32 v107, 0xb3a8, v12
	v_add_f16_e32 v21, v13, v21
	v_fma_f16 v13, v47, s9, v89
	v_mul_f16_e32 v88, 0x3bf1, v34
	v_fma_f16 v12, v47, s8, v107
	v_mul_f16_e32 v108, 0x3770, v34
	v_add_f16_e32 v13, v13, v0
	v_fma_f16 v52, v48, s3, v88
	v_add_f16_e32 v12, v12, v0
	v_fma_f16 v34, v48, s0, v108
	v_mul_f16_e32 v90, 0xba95, v46
	v_add_f16_e32 v13, v52, v13
	v_add_f16_e32 v12, v34, v12
	v_fma_f16 v34, v56, s1, v90
	v_mul_f16_e32 v109, 0xb94e, v46
	v_add_f16_e32 v13, v34, v13
	v_fma_f16 v34, v56, s9, v109
	v_mul_f16_e32 v92, 0x33a8, v49
	;; [unrolled: 3-line block ×7, first 2 shown]
	v_add_f16_e32 v13, v34, v13
	v_fma_f16 v34, v61, s3, v113
	v_add_f16_e32 v12, v34, v12
	v_sub_f16_e32 v34, v1, v17
	v_add_f16_e32 v105, v28, v25
	v_mul_f16_e32 v69, 0xb770, v34
	v_sub_f16_e32 v49, v2, v11
	v_fma_f16 v46, v105, s0, -v69
	v_add_f16_e32 v96, v30, v24
	v_mul_f16_e32 v72, 0xba95, v49
	v_add_f16_sdwa v46, v46, v0 dst_sel:DWORD dst_unused:UNUSED_PAD src0_sel:DWORD src1_sel:WORD_1
	v_fma_f16 v50, v96, s1, -v72
	v_mul_f16_e32 v75, 0xba95, v34
	v_add_f16_e32 v46, v50, v46
	v_fma_f16 v50, v105, s1, -v75
	v_mul_f16_e32 v76, 0xbb7b, v49
	v_add_f16_sdwa v50, v50, v0 dst_sel:DWORD dst_unused:UNUSED_PAD src0_sel:DWORD src1_sel:WORD_1
	v_fma_f16 v51, v96, s2, -v76
	v_mul_f16_e32 v79, 0xbbf1, v34
	v_add_f16_e32 v50, v51, v50
	v_fma_f16 v51, v105, s3, -v79
	;; [unrolled: 6-line block ×3, first 2 shown]
	v_mul_f16_e32 v99, 0x394e, v49
	v_mul_f16_e32 v121, 0xb3a8, v34
	v_add_f16_sdwa v52, v52, v0 dst_sel:DWORD dst_unused:UNUSED_PAD src0_sel:DWORD src1_sel:WORD_1
	v_fma_f16 v53, v96, s9, -v99
	v_mul_f16_e32 v115, 0xb94e, v34
	v_fma_f16 v34, v105, s8, -v121
	v_mul_f16_e32 v122, 0x3770, v49
	v_add_f16_e32 v52, v53, v52
	v_fma_f16 v53, v105, s9, -v115
	v_mul_f16_e32 v116, 0x3bf1, v49
	v_add_f16_sdwa v34, v34, v0 dst_sel:DWORD dst_unused:UNUSED_PAD src0_sel:DWORD src1_sel:WORD_1
	v_fma_f16 v49, v96, s0, -v122
	v_add_f16_sdwa v53, v53, v0 dst_sel:DWORD dst_unused:UNUSED_PAD src0_sel:DWORD src1_sel:WORD_1
	v_fma_f16 v77, v96, s3, -v116
	v_add_f16_e32 v34, v49, v34
	v_sub_f16_e32 v49, v3, v10
	v_add_f16_e32 v53, v77, v53
	v_add_f16_e32 v102, v26, v23
	v_mul_f16_e32 v77, 0xbbf1, v49
	v_fma_f16 v78, v102, s3, -v77
	v_mul_f16_e32 v81, 0xb3a8, v49
	v_add_f16_e32 v46, v78, v46
	v_fma_f16 v78, v102, s8, -v81
	v_mul_f16_e32 v84, 0x3b7b, v49
	v_add_f16_e32 v50, v78, v50
	v_fma_f16 v78, v102, s2, -v84
	v_mul_f16_e32 v104, 0x3770, v49
	v_mul_f16_e32 v123, 0xb94e, v49
	v_add_f16_e32 v51, v78, v51
	v_fma_f16 v78, v102, s0, -v104
	v_mul_f16_e32 v117, 0xba95, v49
	v_fma_f16 v49, v102, s9, -v123
	v_add_f16_e32 v52, v78, v52
	v_fma_f16 v78, v102, s1, -v117
	v_add_f16_e32 v34, v49, v34
	v_sub_f16_e32 v49, v6, v9
	v_add_f16_e32 v53, v78, v53
	v_add_f16_e32 v97, v31, v20
	v_mul_f16_e32 v78, 0xbb7b, v49
	v_fma_f16 v82, v97, s2, -v78
	v_mul_f16_e32 v83, 0x394e, v49
	v_add_f16_e32 v46, v82, v46
	v_fma_f16 v82, v97, s9, -v83
	v_mul_f16_e32 v87, 0x3770, v49
	v_add_f16_e32 v50, v82, v50
	v_fma_f16 v82, v97, s0, -v87
	v_mul_f16_e32 v106, 0xbbf1, v49
	v_mul_f16_e32 v124, 0x3a95, v49
	v_add_f16_e32 v51, v82, v51
	v_fma_f16 v82, v97, s3, -v106
	v_mul_f16_e32 v118, 0x33a8, v49
	v_fma_f16 v49, v97, s1, -v124
	v_add_f16_e32 v52, v82, v52
	v_fma_f16 v82, v97, s8, -v118
	v_add_f16_e32 v34, v49, v34
	v_sub_f16_e32 v49, v7, v8
	v_add_f16_e32 v53, v82, v53
	v_add_f16_e32 v98, v32, v19
	v_mul_f16_e32 v82, 0xb94e, v49
	v_fma_f16 v85, v98, s9, -v82
	v_mul_f16_e32 v86, 0x3bf1, v49
	v_add_f16_e32 v46, v85, v46
	v_fma_f16 v85, v98, s3, -v86
	v_mul_f16_e32 v95, 0xba95, v49
	v_add_f16_e32 v50, v85, v50
	;; [unrolled: 3-line block ×4, first 2 shown]
	v_fma_f16 v85, v98, s0, -v119
	v_mul_f16_e32 v125, 0xbb7b, v49
	v_sub_f16_e32 v127, v4, v5
	v_add_f16_e32 v126, v85, v53
	v_fma_f16 v49, v98, s2, -v125
	v_add_f16_e32 v103, v29, v18
	v_mul_f16_e32 v85, 0xb3a8, v127
	v_add_f16_e32 v34, v49, v34
	v_fma_f16 v49, v103, s8, -v85
	v_mul_f16_e32 v93, 0x3770, v127
	v_add_f16_e32 v49, v49, v46
	v_fma_f16 v46, v103, s0, -v93
	;; [unrolled: 3-line block ×5, first 2 shown]
	v_add_f16_e32 v52, v46, v126
	v_mul_f16_e32 v126, 0x3bf1, v127
	v_fma_f16 v46, v103, s3, -v126
	s_load_dwordx2 s[8:9], s[4:5], 0x20
	s_load_dwordx2 s[2:3], s[4:5], 0x8
	v_add_f16_e32 v34, v46, v34
	v_mul_lo_u16_e32 v46, 13, v42
	s_waitcnt lgkmcnt(0)
	s_barrier
	s_and_saveexec_b64 s[0:1], vcc
	s_cbranch_execz .LBB0_7
; %bb.6:
	v_mul_f16_e32 v127, 0xbbc4, v105
	v_add_f16_e32 v121, v121, v127
	v_mul_f16_e32 v127, 0x3b15, v96
	v_add_f16_e32 v122, v122, v127
	v_add_f16_sdwa v121, v121, v0 dst_sel:DWORD dst_unused:UNUSED_PAD src0_sel:DWORD src1_sel:WORD_1
	v_add_f16_e32 v121, v122, v121
	v_mul_f16_e32 v122, 0xb9fd, v102
	v_add_f16_e32 v122, v123, v122
	v_add_f16_e32 v121, v122, v121
	v_mul_f16_e32 v122, 0x388b, v97
	v_add_f16_e32 v122, v124, v122
	;; [unrolled: 3-line block ×4, first 2 shown]
	v_add_f16_e32 v121, v122, v121
	v_mul_f16_e32 v122, 0xbbc4, v47
	v_sub_f16_e32 v107, v122, v107
	v_mul_f16_e32 v122, 0x3b15, v48
	v_sub_f16_e32 v108, v122, v108
	v_add_f16_e32 v107, v107, v0
	v_add_f16_e32 v107, v108, v107
	v_mul_f16_e32 v108, 0xb9fd, v56
	v_sub_f16_e32 v108, v108, v109
	v_add_f16_e32 v107, v108, v107
	v_mul_f16_e32 v108, 0x388b, v57
	v_sub_f16_e32 v108, v108, v112
	v_add_f16_e32 v107, v108, v107
	v_mul_f16_e32 v108, 0xb5ac, v59
	v_sub_f16_e32 v108, v108, v111
	v_add_f16_e32 v107, v108, v107
	v_mul_f16_e32 v108, 0x2fb7, v61
	v_sub_f16_e32 v108, v108, v113
	v_add_f16_e32 v107, v108, v107
	v_mul_f16_e32 v108, 0xb9fd, v105
	v_add_f16_e32 v108, v115, v108
	v_mul_f16_e32 v113, 0x2fb7, v96
	v_add_f16_e32 v113, v116, v113
	v_add_f16_sdwa v108, v108, v0 dst_sel:DWORD dst_unused:UNUSED_PAD src0_sel:DWORD src1_sel:WORD_1
	v_add_f16_e32 v108, v113, v108
	v_mul_f16_e32 v113, 0x388b, v102
	v_add_f16_e32 v113, v117, v113
	v_add_f16_e32 v108, v113, v108
	v_mul_f16_e32 v113, 0xbbc4, v97
	v_mul_f16_e32 v109, 0x3b15, v47
	;; [unrolled: 1-line block ×4, first 2 shown]
	v_add_f16_e32 v113, v118, v113
	v_mul_f16_e32 v118, 0xb5ac, v47
	v_mul_f16_e32 v47, 0xb9fd, v47
	v_sub_f16_e32 v47, v47, v89
	v_mul_f16_e32 v89, 0x2fb7, v48
	v_sub_f16_e32 v88, v89, v88
	v_add_f16_e32 v47, v47, v0
	v_add_f16_e32 v47, v88, v47
	v_mul_f16_e32 v88, 0x388b, v56
	v_add_f16_e32 v108, v113, v108
	v_mul_f16_e32 v113, 0x3b15, v98
	v_sub_f16_e32 v88, v88, v90
	v_add_f16_e32 v113, v119, v113
	v_add_f16_e32 v47, v88, v47
	v_mul_f16_e32 v88, 0xbbc4, v57
	v_add_f16_e32 v108, v113, v108
	v_mul_f16_e32 v113, 0xb5ac, v103
	v_sub_f16_e32 v88, v88, v92
	v_mul_f16_e32 v111, 0x3b15, v105
	v_mul_f16_e32 v115, 0x388b, v105
	;; [unrolled: 1-line block ×4, first 2 shown]
	v_add_f16_e32 v113, v120, v113
	v_add_f16_e32 v47, v88, v47
	v_mul_f16_e32 v88, 0x3b15, v59
	v_add_f16_e32 v108, v113, v108
	v_mul_f16_e32 v113, 0x388b, v96
	v_mul_f16_e32 v90, 0xb5ac, v96
	v_sub_f16_e32 v88, v88, v91
	v_mul_f16_e32 v91, 0xbbc4, v96
	v_mul_f16_e32 v96, 0xb9fd, v96
	v_add_f16_e32 v100, v100, v105
	v_add_f16_e32 v96, v99, v96
	v_add_f16_sdwa v100, v100, v0 dst_sel:DWORD dst_unused:UNUSED_PAD src0_sel:DWORD src1_sel:WORD_1
	v_add_f16_e32 v96, v96, v100
	v_mul_f16_e32 v100, 0x3b15, v102
	v_add_f16_e32 v100, v104, v100
	v_add_f16_e32 v96, v100, v96
	v_mul_f16_e32 v100, 0x2fb7, v97
	v_add_f16_e32 v100, v106, v100
	v_add_f16_e32 v96, v100, v96
	v_mul_f16_e32 v100, 0xbbc4, v98
	v_mul_f16_e32 v119, 0x388b, v48
	;; [unrolled: 1-line block ×5, first 2 shown]
	v_add_f16_e32 v47, v88, v47
	v_mul_f16_e32 v88, 0xb5ac, v61
	v_add_f16_e32 v100, v110, v100
	v_sub_f16_e32 v73, v118, v73
	v_sub_f16_e32 v88, v88, v94
	v_mul_f16_e32 v94, 0x2fb7, v56
	v_mul_f16_e32 v105, 0xbbc4, v56
	v_mul_f16_e32 v104, 0xb5ac, v56
	v_mul_f16_e32 v56, 0x3b15, v56
	v_add_f16_e32 v96, v100, v96
	v_mul_f16_e32 v100, 0x388b, v103
	v_sub_f16_e32 v48, v48, v71
	v_add_f16_e32 v73, v73, v0
	v_mul_f16_e32 v106, 0xb5ac, v57
	v_add_f16_e32 v100, v114, v100
	v_mul_f16_e32 v114, 0xb9fd, v57
	v_mul_f16_e32 v118, 0x3b15, v57
	;; [unrolled: 1-line block ×3, first 2 shown]
	v_add_f16_e32 v48, v48, v73
	v_sub_f16_e32 v56, v56, v70
	v_sub_f16_e32 v60, v116, v60
	;; [unrolled: 1-line block ×3, first 2 shown]
	v_mul_f16_e32 v71, 0xb9fd, v59
	v_mul_f16_e32 v70, 0x2fb7, v59
	v_add_f16_e32 v48, v56, v48
	v_sub_f16_e32 v57, v57, v67
	v_mul_f16_e32 v67, 0x388b, v59
	v_mul_f16_e32 v59, 0xbbc4, v59
	v_add_f16_e32 v60, v60, v0
	v_sub_f16_e32 v62, v92, v62
	v_add_f16_e32 v35, v35, v0
	v_sub_f16_e32 v37, v89, v37
	;; [unrolled: 2-line block ×5, first 2 shown]
	v_add_f16_e32 v48, v59, v48
	v_mul_f16_e32 v59, 0x388b, v61
	v_add_f16_e32 v60, v62, v60
	v_sub_f16_e32 v62, v118, v64
	v_add_f16_e32 v35, v37, v35
	v_sub_f16_e32 v37, v114, v44
	v_mul_f16_e32 v57, 0xbbc4, v61
	v_sub_f16_e32 v59, v59, v74
	v_mul_f16_e32 v74, 0x3b15, v61
	v_mul_f16_e32 v61, 0xb9fd, v61
	v_add_f16_e32 v60, v62, v60
	v_sub_f16_e32 v62, v67, v65
	v_add_f16_e32 v35, v37, v35
	v_sub_f16_e32 v37, v70, v54
	;; [unrolled: 2-line block ×4, first 2 shown]
	v_add_f16_e32 v79, v79, v117
	v_add_f16_e32 v60, v61, v60
	;; [unrolled: 1-line block ×5, first 2 shown]
	v_sub_f16_e32 v33, v109, v33
	v_add_f16_sdwa v79, v79, v0 dst_sel:DWORD dst_unused:UNUSED_PAD src0_sel:DWORD src1_sel:WORD_1
	v_add_f16_sdwa v61, v61, v0 dst_sel:DWORD dst_unused:UNUSED_PAD src0_sel:DWORD src1_sel:WORD_1
	;; [unrolled: 1-line block ×3, first 2 shown]
	v_add_f16_e32 v33, v33, v0
	v_add_f16_sdwa v25, v25, v0 dst_sel:DWORD dst_unused:UNUSED_PAD src0_sel:DWORD src1_sel:WORD_1
	v_add_f16_e32 v0, v1, v0
	v_add_f16_e32 v24, v24, v25
	;; [unrolled: 1-line block ×14, first 2 shown]
	v_mul_f16_e32 v88, 0x2fb7, v102
	v_mul_f16_e32 v99, 0xbbc4, v102
	v_add_f16_e32 v62, v76, v90
	v_add_f16_e32 v39, v72, v113
	v_sub_f16_e32 v36, v119, v36
	v_add_f16_e32 v18, v32, v18
	v_add_f16_e32 v0, v8, v0
	v_mul_f16_e32 v102, 0xb5ac, v102
	v_mul_f16_e32 v110, 0xb5ac, v97
	v_add_f16_e32 v96, v100, v96
	v_mul_f16_e32 v100, 0xb9fd, v97
	v_add_f16_e32 v80, v80, v91
	v_add_f16_e32 v61, v62, v61
	;; [unrolled: 1-line block ×6, first 2 shown]
	v_sub_f16_e32 v36, v94, v38
	v_add_f16_e32 v18, v31, v18
	v_add_f16_e32 v0, v9, v0
	v_mul_f16_e32 v97, 0x3b15, v97
	v_mul_f16_e32 v73, 0xb9fd, v98
	;; [unrolled: 1-line block ×3, first 2 shown]
	v_add_f16_e32 v79, v80, v79
	v_add_f16_e32 v80, v84, v102
	;; [unrolled: 1-line block ×7, first 2 shown]
	v_sub_f16_e32 v36, v106, v40
	v_add_f16_e32 v18, v26, v18
	v_add_f16_e32 v0, v10, v0
	v_mul_f16_e32 v98, 0x388b, v98
	v_mul_f16_e32 v68, 0xbbc4, v103
	v_add_f16_e32 v48, v59, v48
	v_mul_f16_e32 v59, 0x3b15, v103
	v_add_f16_e32 v79, v80, v79
	v_add_f16_e32 v80, v87, v97
	;; [unrolled: 1-line block ×7, first 2 shown]
	v_sub_f16_e32 v36, v71, v45
	v_add_f16_e32 v18, v30, v18
	v_add_f16_e32 v0, v11, v0
	v_mul_f16_e32 v103, 0xb9fd, v103
	v_add_f16_e32 v79, v80, v79
	v_add_f16_e32 v80, v95, v98
	;; [unrolled: 1-line block ×7, first 2 shown]
	v_sub_f16_e32 v36, v57, v55
	v_add_f16_sdwa v18, v28, v18 dst_sel:WORD_1 dst_unused:UNUSED_PAD src0_sel:DWORD src1_sel:DWORD
	v_add_f16_e32 v0, v17, v0
	v_add_f16_e32 v79, v80, v79
	;; [unrolled: 1-line block ×6, first 2 shown]
	v_or_b32_e32 v0, v18, v0
	v_add_lshl_u32 v1, v27, v46, 2
	v_add_f16_e32 v79, v80, v79
	ds_write_b32 v1, v0
	v_pack_b32_f16 v0, v35, v56
	v_pack_b32_f16 v2, v33, v37
	ds_write2_b32 v1, v2, v0 offset0:1 offset1:2
	v_pack_b32_f16 v0, v48, v96
	v_pack_b32_f16 v2, v60, v79
	ds_write2_b32 v1, v2, v0 offset0:3 offset1:4
	v_pack_b32_f16 v0, v107, v121
	v_pack_b32_f16 v2, v47, v108
	s_mov_b32 s4, 0x5040100
	ds_write2_b32 v1, v2, v0 offset0:5 offset1:6
	v_perm_b32 v0, v52, v13, s4
	v_perm_b32 v2, v34, v12, s4
	ds_write2_b32 v1, v2, v0 offset0:7 offset1:8
	v_perm_b32 v0, v51, v22, s4
	v_perm_b32 v2, v53, v21, s4
	;; [unrolled: 3-line block ×3, first 2 shown]
	ds_write2_b32 v1, v2, v0 offset0:11 offset1:12
.LBB0_7:
	s_or_b64 exec, exec, s[0:1]
	v_add_lshl_u32 v45, v27, v42, 2
	v_add_u32_e32 v0, 0x400, v45
	s_waitcnt lgkmcnt(0)
	s_barrier
	ds_read2_b32 v[10:11], v0 offset0:30 offset1:173
	v_add_u32_e32 v0, 0x800, v45
	ds_read2_b32 v[8:9], v45 offset1:143
	ds_read2_b32 v[23:24], v0 offset0:60 offset1:203
	ds_read_b32 v25, v45 offset:3432
	v_cmp_gt_u16_e64 s[0:1], 52, v42
                                        ; implicit-def: $vgpr26
                                        ; implicit-def: $vgpr28
	s_and_saveexec_b64 s[4:5], s[0:1]
	s_cbranch_execz .LBB0_9
; %bb.8:
	v_add_u32_e32 v0, 0x500, v45
	ds_read2_b32 v[12:13], v45 offset0:91 offset1:234
	v_add_u32_e32 v1, 0xa00, v45
	ds_read2_b32 v[21:22], v0 offset0:57 offset1:200
	ds_read2_b32 v[14:15], v1 offset0:23 offset1:166
	ds_read_b32 v26, v45 offset:3796
	s_waitcnt lgkmcnt(3)
	v_lshrrev_b32_e32 v34, 16, v12
	v_lshrrev_b32_e32 v52, 16, v13
	s_waitcnt lgkmcnt(2)
	v_lshrrev_b32_e32 v53, 16, v21
	v_lshrrev_b32_e32 v51, 16, v22
	;; [unrolled: 3-line block ×3, first 2 shown]
	s_waitcnt lgkmcnt(0)
	v_lshrrev_b32_e32 v28, 16, v26
.LBB0_9:
	s_or_b64 exec, exec, s[4:5]
	s_movk_i32 s4, 0x4f
	v_mul_lo_u16_sdwa v0, v42, s4 dst_sel:DWORD dst_unused:UNUSED_PAD src0_sel:BYTE_0 src1_sel:DWORD
	v_lshrrev_b16_e32 v31, 10, v0
	v_add_u16_e32 v2, 0x5b, v42
	v_mul_lo_u16_e32 v0, 13, v31
	v_mul_lo_u16_sdwa v3, v2, s4 dst_sel:DWORD dst_unused:UNUSED_PAD src0_sel:BYTE_0 src1_sel:DWORD
	v_sub_u16_e32 v32, v42, v0
	v_mov_b32_e32 v0, 6
	v_lshrrev_b16_e32 v47, 10, v3
	v_mul_u32_u24_sdwa v1, v32, v0 dst_sel:DWORD dst_unused:UNUSED_PAD src0_sel:BYTE_0 src1_sel:DWORD
	v_mul_lo_u16_e32 v3, 13, v47
	v_lshlrev_b32_e32 v1, 2, v1
	v_sub_u16_e32 v48, v2, v3
	global_load_dwordx4 v[4:7], v1, s[2:3]
	global_load_dwordx2 v[19:20], v1, s[2:3] offset:16
	v_mul_u32_u24_sdwa v0, v48, v0 dst_sel:DWORD dst_unused:UNUSED_PAD src0_sel:BYTE_0 src1_sel:DWORD
	v_lshlrev_b32_e32 v29, 2, v0
	global_load_dwordx4 v[0:3], v29, s[2:3]
	global_load_dwordx2 v[17:18], v29, s[2:3] offset:16
	s_waitcnt lgkmcnt(2)
	v_lshrrev_b32_e32 v29, 16, v9
	v_lshrrev_b32_e32 v30, 16, v10
	s_waitcnt lgkmcnt(1)
	v_lshrrev_b32_e32 v36, 16, v24
	s_waitcnt lgkmcnt(0)
	v_lshrrev_b32_e32 v37, 16, v25
	v_lshrrev_b32_e32 v33, 16, v11
	v_lshrrev_b32_e32 v35, 16, v23
	s_movk_i32 s4, 0x2b26
	s_movk_i32 s5, 0x3b00
	s_mov_b32 s14, 0xbcab
	s_movk_i32 s15, 0x39e0
	s_mov_b32 s16, 0xb9e0
	;; [unrolled: 2-line block ×3, first 2 shown]
	s_movk_i32 s19, 0x370e
	v_mul_u32_u24_e32 v31, 0x5b, v31
	s_load_dwordx4 s[8:11], s[8:9], 0x0
	v_add_u32_sdwa v31, v31, v32 dst_sel:DWORD dst_unused:UNUSED_PAD src0_sel:DWORD src1_sel:BYTE_0
	s_waitcnt vmcnt(0) lgkmcnt(0)
	s_barrier
	v_mul_f16_sdwa v38, v29, v4 dst_sel:DWORD dst_unused:UNUSED_PAD src0_sel:DWORD src1_sel:WORD_1
	v_mul_f16_sdwa v39, v9, v4 dst_sel:DWORD dst_unused:UNUSED_PAD src0_sel:DWORD src1_sel:WORD_1
	v_mul_f16_sdwa v40, v30, v5 dst_sel:DWORD dst_unused:UNUSED_PAD src0_sel:DWORD src1_sel:WORD_1
	v_mul_f16_sdwa v44, v10, v5 dst_sel:DWORD dst_unused:UNUSED_PAD src0_sel:DWORD src1_sel:WORD_1
	v_mul_f16_sdwa v58, v36, v19 dst_sel:DWORD dst_unused:UNUSED_PAD src0_sel:DWORD src1_sel:WORD_1
	v_mul_f16_sdwa v59, v24, v19 dst_sel:DWORD dst_unused:UNUSED_PAD src0_sel:DWORD src1_sel:WORD_1
	v_mul_f16_sdwa v60, v37, v20 dst_sel:DWORD dst_unused:UNUSED_PAD src0_sel:DWORD src1_sel:WORD_1
	v_mul_f16_sdwa v61, v25, v20 dst_sel:DWORD dst_unused:UNUSED_PAD src0_sel:DWORD src1_sel:WORD_1
	v_mul_f16_sdwa v54, v33, v6 dst_sel:DWORD dst_unused:UNUSED_PAD src0_sel:DWORD src1_sel:WORD_1
	v_mul_f16_sdwa v55, v11, v6 dst_sel:DWORD dst_unused:UNUSED_PAD src0_sel:DWORD src1_sel:WORD_1
	v_mul_f16_sdwa v56, v35, v7 dst_sel:DWORD dst_unused:UNUSED_PAD src0_sel:DWORD src1_sel:WORD_1
	v_mul_f16_sdwa v57, v23, v7 dst_sel:DWORD dst_unused:UNUSED_PAD src0_sel:DWORD src1_sel:WORD_1
	v_mul_f16_sdwa v67, v22, v2 dst_sel:DWORD dst_unused:UNUSED_PAD src0_sel:DWORD src1_sel:WORD_1
	v_mul_f16_sdwa v69, v14, v3 dst_sel:DWORD dst_unused:UNUSED_PAD src0_sel:DWORD src1_sel:WORD_1
	v_fma_f16 v9, v9, v4, -v38
	v_fma_f16 v29, v29, v4, v39
	v_fma_f16 v10, v10, v5, -v40
	v_fma_f16 v30, v30, v5, v44
	;; [unrolled: 2-line block ×4, first 2 shown]
	v_mul_f16_sdwa v66, v51, v2 dst_sel:DWORD dst_unused:UNUSED_PAD src0_sel:DWORD src1_sel:WORD_1
	v_mul_f16_sdwa v68, v50, v3 dst_sel:DWORD dst_unused:UNUSED_PAD src0_sel:DWORD src1_sel:WORD_1
	v_fma_f16 v11, v11, v6, -v54
	v_fma_f16 v33, v33, v6, v55
	v_fma_f16 v23, v23, v7, -v56
	v_fma_f16 v35, v35, v7, v57
	v_fma_f16 v40, v51, v2, v67
	;; [unrolled: 1-line block ×3, first 2 shown]
	v_add_f16_e32 v50, v9, v25
	v_add_f16_e32 v51, v29, v37
	v_sub_f16_e32 v9, v9, v25
	v_sub_f16_e32 v25, v29, v37
	v_add_f16_e32 v29, v10, v24
	v_add_f16_e32 v37, v30, v36
	v_mul_f16_sdwa v63, v13, v0 dst_sel:DWORD dst_unused:UNUSED_PAD src0_sel:DWORD src1_sel:WORD_1
	v_sub_f16_e32 v10, v10, v24
	v_sub_f16_e32 v24, v30, v36
	v_add_f16_e32 v30, v11, v23
	v_add_f16_e32 v36, v33, v35
	v_sub_f16_e32 v11, v23, v11
	v_sub_f16_e32 v23, v35, v33
	v_add_f16_e32 v33, v29, v50
	v_add_f16_e32 v35, v37, v51
	v_mul_f16_sdwa v62, v52, v0 dst_sel:DWORD dst_unused:UNUSED_PAD src0_sel:DWORD src1_sel:WORD_1
	v_mul_f16_sdwa v65, v21, v1 dst_sel:DWORD dst_unused:UNUSED_PAD src0_sel:DWORD src1_sel:WORD_1
	v_fma_f16 v38, v52, v0, v63
	v_sub_f16_e32 v52, v29, v50
	v_sub_f16_e32 v50, v50, v30
	;; [unrolled: 1-line block ×3, first 2 shown]
	v_add_f16_e32 v30, v30, v33
	v_add_f16_e32 v33, v36, v35
	v_mul_f16_sdwa v64, v53, v1 dst_sel:DWORD dst_unused:UNUSED_PAD src0_sel:DWORD src1_sel:WORD_1
	v_fma_f16 v39, v53, v1, v65
	v_sub_f16_e32 v53, v37, v51
	v_sub_f16_e32 v51, v51, v36
	;; [unrolled: 1-line block ×3, first 2 shown]
	v_add_f16_e32 v54, v11, v10
	v_add_f16_e32 v55, v23, v24
	v_sub_f16_e32 v56, v11, v10
	v_sub_f16_e32 v57, v23, v24
	;; [unrolled: 1-line block ×3, first 2 shown]
	v_add_f16_e32 v35, v30, v8
	v_add_f16_sdwa v8, v33, v8 dst_sel:DWORD dst_unused:UNUSED_PAD src0_sel:DWORD src1_sel:WORD_1
	v_sub_f16_e32 v11, v9, v11
	v_sub_f16_e32 v23, v25, v23
	;; [unrolled: 1-line block ×3, first 2 shown]
	v_add_f16_e32 v9, v54, v9
	v_add_f16_e32 v25, v55, v25
	v_lshlrev_b32_e32 v36, 16, v8
	v_mul_f16_e32 v50, 0x3a52, v50
	v_mul_f16_e32 v51, 0x3a52, v51
	v_mul_f16_e32 v54, 0x2b26, v29
	v_mul_f16_e32 v55, 0x2b26, v37
	v_mul_f16_e32 v56, 0xb846, v56
	v_mul_f16_e32 v57, 0xb846, v57
	v_mul_f16_e32 v58, 0x3b00, v10
	v_mul_f16_sdwa v70, v49, v17 dst_sel:DWORD dst_unused:UNUSED_PAD src0_sel:DWORD src1_sel:WORD_1
	v_mul_f16_sdwa v71, v15, v17 dst_sel:DWORD dst_unused:UNUSED_PAD src0_sel:DWORD src1_sel:WORD_1
	;; [unrolled: 1-line block ×4, first 2 shown]
	v_or_b32_e32 v36, v36, v35
	v_mul_f16_e32 v59, 0x3b00, v24
	v_fma_f16 v30, v30, s14, v35
	v_fma_f16 v8, v33, s14, v8
	;; [unrolled: 1-line block ×4, first 2 shown]
	v_fma_f16 v35, v52, s15, -v54
	v_fma_f16 v37, v53, s15, -v55
	;; [unrolled: 1-line block ×4, first 2 shown]
	v_fma_f16 v52, v11, s17, v56
	v_fma_f16 v10, v10, s5, -v56
	v_fma_f16 v24, v24, s5, -v57
	;; [unrolled: 1-line block ×8, first 2 shown]
	v_fma_f16 v49, v49, v17, v71
	v_fma_f16 v26, v26, v18, -v72
	v_fma_f16 v28, v28, v18, v73
	v_fma_f16 v53, v23, s17, v57
	v_fma_f16 v23, v23, s18, -v59
	v_add_f16_e32 v29, v29, v30
	v_add_f16_e32 v33, v33, v8
	;; [unrolled: 1-line block ×6, first 2 shown]
	v_fma_f16 v50, v9, s19, v52
	v_fma_f16 v10, v9, s19, v10
	;; [unrolled: 1-line block ×6, first 2 shown]
	v_sub_f16_e32 v56, v8, v9
	v_sub_f16_e32 v57, v35, v24
	v_add_f16_e32 v58, v10, v37
	v_add_f16_e32 v35, v24, v35
	v_sub_f16_e32 v37, v37, v10
	v_add_f16_e32 v60, v9, v8
	v_add_f16_e32 v8, v13, v26
	;; [unrolled: 1-line block ×3, first 2 shown]
	v_sub_f16_e32 v10, v13, v26
	v_add_f16_e32 v13, v21, v15
	v_add_f16_e32 v23, v39, v49
	v_sub_f16_e32 v15, v21, v15
	v_sub_f16_e32 v21, v39, v49
	v_add_f16_e32 v24, v22, v14
	v_sub_f16_e32 v14, v14, v22
	v_sub_f16_e32 v22, v44, v40
	v_add_f16_e32 v53, v51, v29
	v_add_f16_e32 v55, v11, v30
	v_sub_f16_e32 v59, v30, v11
	v_sub_f16_e32 v61, v29, v51
	;; [unrolled: 1-line block ×3, first 2 shown]
	v_add_f16_e32 v25, v40, v44
	v_add_f16_e32 v26, v13, v8
	v_add_f16_e32 v28, v23, v9
	v_sub_f16_e32 v29, v13, v8
	v_sub_f16_e32 v38, v8, v24
	v_add_f16_e32 v8, v14, v15
	v_sub_f16_e32 v44, v22, v21
	v_sub_f16_e32 v30, v23, v9
	;; [unrolled: 1-line block ×5, first 2 shown]
	v_add_f16_e32 v9, v22, v21
	v_sub_f16_e32 v40, v14, v15
	v_sub_f16_e32 v14, v10, v14
	;; [unrolled: 1-line block ×4, first 2 shown]
	v_add_f16_e32 v24, v24, v26
	v_add_f16_e32 v25, v25, v28
	v_add_f16_e32 v26, v8, v10
	v_mul_f16_e32 v10, 0x3a52, v38
	v_mul_f16_e32 v38, 0xb846, v44
	v_sub_f16_e32 v54, v33, v50
	v_add_f16_e32 v33, v50, v33
	v_sub_f16_e32 v21, v21, v11
	v_add_f16_e32 v49, v9, v11
	v_add_f16_e32 v9, v34, v25
	v_mul_f16_e32 v34, 0xb846, v40
	v_fma_f16 v50, v22, s17, v38
	v_add_f16_e32 v8, v12, v24
	v_mul_f16_e32 v11, 0x3a52, v39
	v_mul_f16_e32 v12, 0x2b26, v13
	;; [unrolled: 1-line block ×5, first 2 shown]
	v_fma_f16 v44, v14, s17, v34
	v_fma_f16 v34, v15, s5, -v34
	v_fma_f16 v15, v49, s19, v50
	v_add_lshl_u32 v50, v27, v31, 2
	v_pack_b32_f16 v31, v53, v54
	v_fma_f16 v24, v24, s14, v8
	v_fma_f16 v25, v25, s14, v9
	;; [unrolled: 1-line block ×4, first 2 shown]
	v_fma_f16 v12, v29, s15, -v12
	v_fma_f16 v28, v30, s15, -v28
	;; [unrolled: 1-line block ×7, first 2 shown]
	ds_write2_b32 v50, v36, v31 offset1:13
	v_pack_b32_f16 v31, v55, v56
	v_pack_b32_f16 v32, v57, v58
	v_add_f16_e32 v10, v13, v24
	v_add_f16_e32 v11, v23, v25
	;; [unrolled: 1-line block ×6, first 2 shown]
	v_fma_f16 v14, v26, s19, v44
	v_fma_f16 v23, v26, s19, v34
	;; [unrolled: 1-line block ×5, first 2 shown]
	ds_write2_b32 v50, v31, v32 offset0:26 offset1:39
	v_pack_b32_f16 v31, v35, v37
	v_pack_b32_f16 v32, v59, v60
	v_add_f16_e32 v25, v28, v12
	v_sub_f16_e32 v51, v21, v23
	v_sub_f16_e32 v26, v13, v30
	v_add_f16_e32 v52, v29, v22
	v_sub_f16_e32 v24, v10, v15
	v_add_f16_e32 v49, v14, v11
	ds_write2_b32 v50, v31, v32 offset0:52 offset1:65
	v_pack_b32_f16 v31, v61, v33
	ds_write_b32 v50, v31 offset:312
	s_and_saveexec_b64 s[4:5], s[0:1]
	s_cbranch_execz .LBB0_11
; %bb.10:
	v_sub_f16_e32 v11, v11, v14
	v_mul_u32_u24_e32 v14, 0x5b, v47
	v_add_f16_e32 v10, v15, v10
	v_add_u32_sdwa v14, v14, v48 dst_sel:DWORD dst_unused:UNUSED_PAD src0_sel:DWORD src1_sel:BYTE_0
	s_mov_b32 s14, 0x5040100
	v_add_f16_e32 v21, v23, v21
	v_sub_f16_e32 v12, v12, v28
	v_sub_f16_e32 v22, v22, v29
	v_add_f16_e32 v13, v30, v13
	v_add_lshl_u32 v14, v27, v14, 2
	v_perm_b32 v8, v9, v8, s14
	v_pack_b32_f16 v9, v10, v11
	ds_write2_b32 v14, v8, v9 offset1:13
	v_pack_b32_f16 v8, v13, v22
	v_pack_b32_f16 v9, v12, v21
	ds_write2_b32 v14, v8, v9 offset0:26 offset1:39
	v_perm_b32 v8, v51, v25, s14
	v_perm_b32 v9, v52, v26, s14
	ds_write2_b32 v14, v8, v9 offset0:52 offset1:65
	v_perm_b32 v8, v49, v24, s14
	ds_write_b32 v14, v8 offset:312
.LBB0_11:
	s_or_b64 exec, exec, s[4:5]
	v_mad_u64_u32 v[27:28], s[2:3], v42, 40, s[2:3]
	s_waitcnt lgkmcnt(0)
	s_barrier
	global_load_dwordx4 v[8:11], v[27:28], off offset:312
	global_load_dwordx4 v[12:15], v[27:28], off offset:328
	global_load_dwordx2 v[21:22], v[27:28], off offset:344
	ds_read_b32 v23, v45
	ds_read2_b32 v[27:28], v45 offset0:91 offset1:182
	v_add_u32_e32 v29, 0x400, v45
	v_add_u32_e32 v31, 0x600, v45
	;; [unrolled: 1-line block ×4, first 2 shown]
	ds_read2_b32 v[29:30], v29 offset0:17 offset1:108
	ds_read2_b32 v[31:32], v31 offset0:71 offset1:162
	;; [unrolled: 1-line block ×4, first 2 shown]
	s_waitcnt lgkmcnt(4)
	v_lshrrev_b32_e32 v37, 16, v27
	v_lshrrev_b32_e32 v38, 16, v28
	s_waitcnt lgkmcnt(3)
	v_lshrrev_b32_e32 v39, 16, v29
	s_waitcnt lgkmcnt(2)
	;; [unrolled: 2-line block ×3, first 2 shown]
	v_lshrrev_b32_e32 v57, 16, v36
	v_lshrrev_b32_e32 v40, 16, v30
	v_lshrrev_b32_e32 v44, 16, v31
	v_lshrrev_b32_e32 v54, 16, v33
	v_lshrrev_b32_e32 v55, 16, v34
	v_lshrrev_b32_e32 v56, 16, v35
	s_movk_i32 s2, 0x3abb
	s_movk_i32 s3, 0x36a6
	s_mov_b32 s4, 0xb08e
	s_mov_b32 s5, 0xb93d
	;; [unrolled: 1-line block ×3, first 2 shown]
	s_waitcnt vmcnt(2)
	v_mul_f16_sdwa v58, v37, v8 dst_sel:DWORD dst_unused:UNUSED_PAD src0_sel:DWORD src1_sel:WORD_1
	v_mul_f16_sdwa v59, v27, v8 dst_sel:DWORD dst_unused:UNUSED_PAD src0_sel:DWORD src1_sel:WORD_1
	;; [unrolled: 1-line block ×4, first 2 shown]
	s_waitcnt vmcnt(1)
	v_mul_f16_sdwa v69, v32, v13 dst_sel:DWORD dst_unused:UNUSED_PAD src0_sel:DWORD src1_sel:WORD_1
	s_waitcnt vmcnt(0)
	v_mul_f16_sdwa v77, v36, v22 dst_sel:DWORD dst_unused:UNUSED_PAD src0_sel:DWORD src1_sel:WORD_1
	v_fma_f16 v27, v27, v8, -v58
	v_fma_f16 v37, v37, v8, v59
	v_mul_f16_sdwa v62, v39, v10 dst_sel:DWORD dst_unused:UNUSED_PAD src0_sel:DWORD src1_sel:WORD_1
	v_mul_f16_sdwa v63, v29, v10 dst_sel:DWORD dst_unused:UNUSED_PAD src0_sel:DWORD src1_sel:WORD_1
	;; [unrolled: 1-line block ×4, first 2 shown]
	v_fma_f16 v28, v28, v9, -v60
	v_fma_f16 v38, v38, v9, v61
	v_fma_f16 v58, v53, v13, v69
	;; [unrolled: 1-line block ×3, first 2 shown]
	v_add_f16_e32 v57, v27, v23
	v_add_f16_sdwa v59, v37, v23 dst_sel:DWORD dst_unused:UNUSED_PAD src0_sel:DWORD src1_sel:WORD_1
	v_mul_f16_sdwa v64, v40, v11 dst_sel:DWORD dst_unused:UNUSED_PAD src0_sel:DWORD src1_sel:WORD_1
	v_mul_f16_sdwa v65, v30, v11 dst_sel:DWORD dst_unused:UNUSED_PAD src0_sel:DWORD src1_sel:WORD_1
	v_fma_f16 v29, v29, v10, -v62
	v_fma_f16 v39, v39, v10, v63
	v_add_f16_e32 v57, v57, v28
	v_add_f16_e32 v59, v59, v38
	v_mul_f16_sdwa v66, v44, v12 dst_sel:DWORD dst_unused:UNUSED_PAD src0_sel:DWORD src1_sel:WORD_1
	v_mul_f16_sdwa v67, v31, v12 dst_sel:DWORD dst_unused:UNUSED_PAD src0_sel:DWORD src1_sel:WORD_1
	v_fma_f16 v30, v30, v11, -v64
	v_fma_f16 v40, v40, v11, v65
	v_add_f16_e32 v57, v57, v29
	v_add_f16_e32 v59, v59, v39
	v_fma_f16 v31, v31, v12, -v66
	v_fma_f16 v44, v44, v12, v67
	v_add_f16_e32 v57, v57, v30
	v_add_f16_e32 v59, v59, v40
	v_mul_f16_sdwa v70, v54, v14 dst_sel:DWORD dst_unused:UNUSED_PAD src0_sel:DWORD src1_sel:WORD_1
	v_mul_f16_sdwa v71, v33, v14 dst_sel:DWORD dst_unused:UNUSED_PAD src0_sel:DWORD src1_sel:WORD_1
	v_fma_f16 v32, v32, v13, -v68
	v_add_f16_e32 v57, v57, v31
	v_add_f16_e32 v59, v59, v44
	v_mul_f16_sdwa v72, v55, v15 dst_sel:DWORD dst_unused:UNUSED_PAD src0_sel:DWORD src1_sel:WORD_1
	v_mul_f16_sdwa v73, v34, v15 dst_sel:DWORD dst_unused:UNUSED_PAD src0_sel:DWORD src1_sel:WORD_1
	v_fma_f16 v33, v33, v14, -v70
	v_fma_f16 v54, v54, v14, v71
	v_add_f16_e32 v57, v57, v32
	v_add_f16_e32 v59, v59, v58
	v_mul_f16_sdwa v74, v56, v21 dst_sel:DWORD dst_unused:UNUSED_PAD src0_sel:DWORD src1_sel:WORD_1
	v_mul_f16_sdwa v75, v35, v21 dst_sel:DWORD dst_unused:UNUSED_PAD src0_sel:DWORD src1_sel:WORD_1
	v_fma_f16 v34, v34, v15, -v72
	v_fma_f16 v55, v55, v15, v73
	v_add_f16_e32 v57, v57, v33
	v_add_f16_e32 v59, v59, v54
	v_fma_f16 v35, v35, v21, -v74
	v_fma_f16 v56, v56, v21, v75
	v_add_f16_e32 v57, v57, v34
	v_add_f16_e32 v59, v59, v55
	v_fma_f16 v36, v36, v22, -v76
	v_add_f16_e32 v61, v37, v53
	v_sub_f16_e32 v37, v37, v53
	v_add_f16_e32 v57, v57, v35
	v_add_f16_e32 v59, v59, v56
	;; [unrolled: 1-line block ×3, first 2 shown]
	v_sub_f16_e32 v27, v27, v36
	v_mul_f16_e32 v62, 0xb853, v37
	v_add_f16_e32 v36, v57, v36
	v_add_f16_sdwa v53, v59, v53 dst_sel:WORD_1 dst_unused:UNUSED_PAD src0_sel:DWORD src1_sel:DWORD
	v_fma_f16 v63, v60, s2, -v62
	v_or_b32_e32 v53, v53, v36
	v_mul_f16_e32 v36, 0xb853, v27
	v_fma_f16 v59, v60, s2, v62
	v_mul_f16_e32 v62, 0xbb47, v37
	v_mul_f16_e32 v65, 0xbb47, v27
	;; [unrolled: 1-line block ×8, first 2 shown]
	v_fma_f16 v57, v61, s2, v36
	v_fma_f16 v36, v61, s2, -v36
	v_fma_f16 v64, v60, s3, -v62
	v_fma_f16 v66, v61, s3, v65
	v_fma_f16 v62, v60, s3, v62
	v_fma_f16 v65, v61, s3, -v65
	v_fma_f16 v68, v60, s4, -v67
	v_fma_f16 v70, v61, s4, v69
	;; [unrolled: 4-line block ×4, first 2 shown]
	v_fma_f16 v37, v60, s14, v37
	v_fma_f16 v27, v61, s14, -v27
	v_add_f16_e32 v63, v63, v23
	v_add_f16_sdwa v57, v57, v23 dst_sel:DWORD dst_unused:UNUSED_PAD src0_sel:DWORD src1_sel:WORD_1
	v_add_f16_e32 v59, v59, v23
	v_add_f16_sdwa v36, v36, v23 dst_sel:DWORD dst_unused:UNUSED_PAD src0_sel:DWORD src1_sel:WORD_1
	;; [unrolled: 2-line block ×10, first 2 shown]
	v_add_f16_e32 v27, v28, v35
	v_sub_f16_e32 v28, v28, v35
	v_sub_f16_e32 v35, v38, v56
	v_add_f16_e32 v60, v38, v56
	v_mul_f16_e32 v38, 0xbb47, v35
	v_fma_f16 v56, v27, s3, -v38
	v_mul_f16_e32 v61, 0xbb47, v28
	v_fma_f16 v38, v27, s3, v38
	v_add_f16_e32 v38, v38, v59
	v_fma_f16 v59, v60, s3, -v61
	v_add_f16_e32 v56, v56, v63
	v_fma_f16 v63, v60, s3, v61
	v_add_f16_e32 v36, v59, v36
	v_mul_f16_e32 v59, 0xba0c, v35
	v_add_f16_e32 v57, v63, v57
	v_fma_f16 v61, v27, s5, -v59
	v_mul_f16_e32 v63, 0xba0c, v28
	v_fma_f16 v59, v27, s5, v59
	v_add_f16_e32 v61, v61, v64
	v_fma_f16 v64, v60, s5, v63
	v_add_f16_e32 v59, v59, v62
	v_fma_f16 v62, v60, s5, -v63
	v_mul_f16_e32 v63, 0x3482, v35
	v_add_f16_e32 v64, v64, v66
	v_add_f16_e32 v62, v62, v65
	v_fma_f16 v65, v27, s14, -v63
	v_mul_f16_e32 v66, 0x3482, v28
	v_fma_f16 v63, v27, s14, v63
	v_add_f16_e32 v65, v65, v68
	v_fma_f16 v68, v60, s14, v66
	v_add_f16_e32 v63, v63, v67
	v_fma_f16 v66, v60, s14, -v66
	v_mul_f16_e32 v67, 0x3beb, v35
	v_add_f16_e32 v68, v68, v70
	v_add_f16_e32 v66, v66, v69
	v_fma_f16 v69, v27, s4, -v67
	v_mul_f16_e32 v70, 0x3beb, v28
	v_add_f16_e32 v69, v69, v72
	v_fma_f16 v72, v60, s4, v70
	v_fma_f16 v70, v60, s4, -v70
	v_mul_f16_e32 v28, 0x3853, v28
	v_fma_f16 v67, v27, s4, v67
	v_add_f16_e32 v70, v70, v73
	v_mul_f16_e32 v35, 0x3853, v35
	v_fma_f16 v73, v60, s2, v28
	v_fma_f16 v28, v60, s2, -v28
	v_add_f16_e32 v67, v67, v71
	v_fma_f16 v71, v27, s2, -v35
	v_fma_f16 v27, v27, s2, v35
	v_add_f16_e32 v23, v28, v23
	v_add_f16_e32 v28, v29, v34
	v_sub_f16_e32 v29, v29, v34
	v_sub_f16_e32 v34, v39, v55
	v_add_f16_e32 v27, v27, v37
	v_mul_f16_e32 v37, 0xbbeb, v34
	v_add_f16_e32 v35, v39, v55
	v_fma_f16 v39, v28, s4, -v37
	v_mul_f16_e32 v55, 0xbbeb, v29
	v_fma_f16 v37, v28, s4, v37
	v_add_f16_e32 v37, v37, v38
	v_fma_f16 v38, v35, s4, -v55
	v_add_f16_e32 v36, v38, v36
	v_mul_f16_e32 v38, 0x3482, v34
	v_add_f16_e32 v39, v39, v56
	v_fma_f16 v56, v35, s4, v55
	v_fma_f16 v55, v28, s14, -v38
	v_fma_f16 v38, v28, s14, v38
	v_add_f16_e32 v56, v56, v57
	v_mul_f16_e32 v57, 0x3482, v29
	v_add_f16_e32 v38, v38, v59
	v_mul_f16_e32 v59, 0x3b47, v34
	v_add_f16_e32 v55, v55, v61
	v_fma_f16 v60, v35, s14, v57
	v_fma_f16 v57, v35, s14, -v57
	v_fma_f16 v61, v28, s3, -v59
	v_fma_f16 v59, v28, s3, v59
	v_add_f16_e32 v57, v57, v62
	v_mul_f16_e32 v62, 0x3b47, v29
	v_add_f16_e32 v59, v59, v63
	v_mul_f16_e32 v63, 0xb853, v34
	v_add_f16_e32 v60, v60, v64
	v_add_f16_e32 v61, v61, v65
	v_fma_f16 v64, v35, s3, v62
	v_fma_f16 v62, v35, s3, -v62
	v_fma_f16 v65, v28, s2, -v63
	v_fma_f16 v63, v28, s2, v63
	v_mul_f16_e32 v34, 0xba0c, v34
	v_add_f16_e32 v62, v62, v66
	v_mul_f16_e32 v66, 0xb853, v29
	v_add_f16_e32 v63, v63, v67
	v_fma_f16 v67, v28, s5, -v34
	v_mul_f16_e32 v29, 0xba0c, v29
	v_fma_f16 v28, v28, s5, v34
	v_add_f16_e32 v27, v28, v27
	v_fma_f16 v28, v35, s5, -v29
	v_add_f16_e32 v23, v28, v23
	v_add_f16_e32 v28, v30, v33
	v_sub_f16_e32 v30, v30, v33
	v_sub_f16_e32 v33, v40, v54
	v_mul_f16_e32 v34, 0xba0c, v33
	v_add_f16_e32 v64, v64, v68
	v_add_f16_e32 v65, v65, v69
	v_fma_f16 v68, v35, s2, v66
	v_fma_f16 v66, v35, s2, -v66
	v_fma_f16 v69, v35, s5, v29
	v_fma_f16 v35, v28, s5, -v34
	v_add_f16_e32 v29, v40, v54
	v_add_f16_e32 v35, v35, v39
	v_mul_f16_e32 v39, 0xba0c, v30
	v_fma_f16 v34, v28, s5, v34
	v_add_f16_e32 v34, v34, v37
	v_fma_f16 v37, v29, s5, -v39
	v_add_f16_e32 v36, v37, v36
	v_mul_f16_e32 v37, 0x3beb, v33
	v_fma_f16 v40, v29, s5, v39
	v_fma_f16 v39, v28, s4, -v37
	v_mul_f16_e32 v54, 0x3beb, v30
	v_fma_f16 v37, v28, s4, v37
	v_add_f16_e32 v39, v39, v55
	v_fma_f16 v55, v29, s4, v54
	v_add_f16_e32 v37, v37, v38
	v_fma_f16 v38, v29, s4, -v54
	v_mul_f16_e32 v54, 0xb853, v33
	v_add_f16_e32 v40, v40, v56
	v_add_f16_e32 v38, v38, v57
	v_fma_f16 v56, v28, s2, -v54
	v_mul_f16_e32 v57, 0xb853, v30
	v_fma_f16 v54, v28, s2, v54
	v_add_f16_e32 v56, v56, v61
	v_add_f16_e32 v61, v54, v59
	v_fma_f16 v54, v29, s2, -v57
	v_add_f16_e32 v62, v54, v62
	v_mul_f16_e32 v54, 0xb482, v33
	v_add_f16_e32 v55, v55, v60
	v_fma_f16 v60, v29, s2, v57
	v_fma_f16 v57, v28, s14, -v54
	v_add_f16_e32 v60, v60, v64
	v_add_f16_e32 v64, v57, v65
	v_mul_f16_e32 v57, 0xb482, v30
	v_fma_f16 v54, v28, s14, v54
	v_add_f16_e32 v71, v71, v75
	v_add_f16_e32 v66, v66, v70
	;; [unrolled: 1-line block ×3, first 2 shown]
	v_fma_f16 v54, v29, s14, -v57
	v_mul_f16_e32 v33, 0x3b47, v33
	v_add_f16_e32 v72, v72, v74
	v_add_f16_e32 v73, v73, v76
	;; [unrolled: 1-line block ×4, first 2 shown]
	v_fma_f16 v54, v28, s3, -v33
	v_mul_f16_e32 v30, 0x3b47, v30
	v_add_f16_e32 v68, v68, v72
	v_add_f16_e32 v69, v69, v73
	v_fma_f16 v59, v29, s14, v57
	v_add_f16_e32 v67, v54, v67
	v_fma_f16 v54, v29, s3, v30
	v_fma_f16 v28, v28, s3, v33
	v_add_f16_e32 v71, v44, v58
	v_sub_f16_e32 v72, v31, v32
	v_sub_f16_e32 v44, v44, v58
	v_add_f16_e32 v65, v59, v68
	v_add_f16_e32 v68, v54, v69
	;; [unrolled: 1-line block ×3, first 2 shown]
	v_fma_f16 v27, v29, s3, -v30
	v_add_f16_e32 v70, v31, v32
	v_mul_f16_e32 v28, 0xb482, v44
	v_mul_f16_e32 v29, 0xb482, v72
	v_add_f16_e32 v23, v27, v23
	v_fma_f16 v27, v70, s14, -v28
	v_fma_f16 v30, v71, s14, v29
	v_fma_f16 v28, v70, s14, v28
	v_add_f16_e32 v54, v30, v40
	v_add_f16_e32 v32, v28, v34
	v_fma_f16 v28, v71, s14, -v29
	v_mul_f16_e32 v29, 0x3853, v44
	v_mul_f16_e32 v30, 0x3853, v72
	v_add_f16_e32 v57, v28, v36
	v_fma_f16 v28, v70, s2, -v29
	v_fma_f16 v31, v71, s2, v30
	v_fma_f16 v29, v70, s2, v29
	v_add_f16_e32 v55, v31, v55
	v_add_f16_e32 v31, v29, v37
	v_fma_f16 v29, v71, s2, -v30
	v_mul_f16_e32 v30, 0xba0c, v44
	v_mul_f16_e32 v33, 0xba0c, v72
	v_add_f16_e32 v27, v27, v35
	v_add_f16_e32 v59, v29, v38
	v_fma_f16 v29, v70, s5, -v30
	v_fma_f16 v34, v71, s5, v33
	v_fma_f16 v30, v70, s5, v30
	v_mul_f16_e32 v35, 0x3b47, v72
	v_add_f16_e32 v29, v29, v56
	v_add_f16_e32 v56, v34, v60
	;; [unrolled: 1-line block ×3, first 2 shown]
	v_fma_f16 v30, v71, s5, -v33
	v_mul_f16_e32 v33, 0x3b47, v44
	v_fma_f16 v36, v71, s3, v35
	v_mul_f16_e32 v37, 0xbbeb, v72
	v_add_f16_e32 v28, v28, v39
	v_add_f16_e32 v61, v30, v62
	v_fma_f16 v30, v70, s3, -v33
	v_add_f16_e32 v58, v36, v65
	v_fma_f16 v33, v70, s3, v33
	v_fma_f16 v35, v71, s3, -v35
	v_mul_f16_e32 v36, 0xbbeb, v44
	v_fma_f16 v38, v71, s4, v37
	v_fma_f16 v37, v71, s4, -v37
	v_add_f16_e32 v30, v30, v64
	v_add_f16_e32 v33, v33, v63
	;; [unrolled: 1-line block ×3, first 2 shown]
	v_fma_f16 v35, v70, s4, -v36
	v_fma_f16 v36, v70, s4, v36
	v_add_f16_e32 v62, v37, v23
	v_lshl_add_u32 v44, v42, 2, v43
	v_pack_b32_f16 v23, v27, v54
	v_pack_b32_f16 v37, v28, v55
	v_add_f16_e32 v35, v35, v67
	v_add_f16_e32 v60, v38, v68
	;; [unrolled: 1-line block ×3, first 2 shown]
	ds_write_b32 v44, v53
	ds_write2_b32 v44, v23, v37 offset0:91 offset1:182
	v_pack_b32_f16 v23, v29, v56
	v_pack_b32_f16 v38, v30, v58
	v_add_u32_e32 v37, 0x400, v44
	ds_write2_b32 v37, v23, v38 offset0:17 offset1:108
	v_pack_b32_f16 v23, v35, v60
	v_pack_b32_f16 v38, v36, v62
	v_add_u32_e32 v39, 0x600, v44
	;; [unrolled: 4-line block ×4, first 2 shown]
	ds_write2_b32 v23, v39, v40 offset0:51 offset1:142
	s_waitcnt lgkmcnt(0)
	s_barrier
	s_and_saveexec_b64 s[2:3], vcc
	s_cbranch_execz .LBB0_13
; %bb.12:
	global_load_dword v39, v41, s[6:7] offset:4004
	s_add_u32 s4, s6, 0xfa4
	s_addc_u32 s5, s7, 0
	global_load_dword v74, v41, s[4:5] offset:308
	global_load_dword v75, v41, s[4:5] offset:616
	;; [unrolled: 1-line block ×10, first 2 shown]
	ds_read_b32 v40, v44
	global_load_dword v86, v41, s[4:5] offset:3388
	global_load_dword v87, v41, s[4:5] offset:3696
	v_add_u32_e32 v84, 0x200, v44
	v_add_u32_e32 v85, 0xa00, v44
	s_waitcnt lgkmcnt(0)
	v_lshrrev_b32_e32 v64, 16, v40
	s_waitcnt vmcnt(12)
	v_mul_f16_sdwa v65, v64, v39 dst_sel:DWORD dst_unused:UNUSED_PAD src0_sel:DWORD src1_sel:WORD_1
	v_mul_f16_sdwa v66, v40, v39 dst_sel:DWORD dst_unused:UNUSED_PAD src0_sel:DWORD src1_sel:WORD_1
	v_fma_f16 v40, v40, v39, -v65
	v_fma_f16 v39, v64, v39, v66
	v_pack_b32_f16 v39, v40, v39
	ds_write_b32 v44, v39
	ds_read2_b32 v[39:40], v44 offset0:77 offset1:154
	ds_read2_b32 v[64:65], v84 offset0:103 offset1:180
	;; [unrolled: 1-line block ×6, first 2 shown]
	s_waitcnt lgkmcnt(5)
	v_lshrrev_b32_e32 v88, 16, v39
	s_waitcnt vmcnt(11)
	v_mul_f16_sdwa v89, v39, v74 dst_sel:DWORD dst_unused:UNUSED_PAD src0_sel:DWORD src1_sel:WORD_1
	v_lshrrev_b32_e32 v90, 16, v40
	s_waitcnt vmcnt(10)
	v_mul_f16_sdwa v91, v40, v75 dst_sel:DWORD dst_unused:UNUSED_PAD src0_sel:DWORD src1_sel:WORD_1
	s_waitcnt lgkmcnt(4)
	v_lshrrev_b32_e32 v92, 16, v64
	s_waitcnt vmcnt(9)
	v_mul_f16_sdwa v93, v64, v76 dst_sel:DWORD dst_unused:UNUSED_PAD src0_sel:DWORD src1_sel:WORD_1
	v_lshrrev_b32_e32 v94, 16, v65
	s_waitcnt vmcnt(8)
	v_mul_f16_sdwa v95, v65, v77 dst_sel:DWORD dst_unused:UNUSED_PAD src0_sel:DWORD src1_sel:WORD_1
	;; [unrolled: 7-line block ×4, first 2 shown]
	s_waitcnt lgkmcnt(1)
	v_lshrrev_b32_e32 v104, 16, v70
	s_waitcnt vmcnt(3)
	v_mul_f16_sdwa v105, v70, v82 dst_sel:DWORD dst_unused:UNUSED_PAD src0_sel:DWORD src1_sel:WORD_1
	v_lshrrev_b32_e32 v106, 16, v71
	v_mul_f16_sdwa v108, v88, v74 dst_sel:DWORD dst_unused:UNUSED_PAD src0_sel:DWORD src1_sel:WORD_1
	v_fma_f16 v88, v88, v74, v89
	v_mul_f16_sdwa v89, v90, v75 dst_sel:DWORD dst_unused:UNUSED_PAD src0_sel:DWORD src1_sel:WORD_1
	s_waitcnt vmcnt(2)
	v_mul_f16_sdwa v107, v71, v83 dst_sel:DWORD dst_unused:UNUSED_PAD src0_sel:DWORD src1_sel:WORD_1
	v_fma_f16 v90, v90, v75, v91
	v_mul_f16_sdwa v91, v92, v76 dst_sel:DWORD dst_unused:UNUSED_PAD src0_sel:DWORD src1_sel:WORD_1
	v_fma_f16 v92, v92, v76, v93
	v_mul_f16_sdwa v93, v94, v77 dst_sel:DWORD dst_unused:UNUSED_PAD src0_sel:DWORD src1_sel:WORD_1
	v_fma_f16 v94, v94, v77, v95
	v_mul_f16_sdwa v95, v96, v78 dst_sel:DWORD dst_unused:UNUSED_PAD src0_sel:DWORD src1_sel:WORD_1
	v_fma_f16 v96, v96, v78, v97
	v_mul_f16_sdwa v97, v98, v79 dst_sel:DWORD dst_unused:UNUSED_PAD src0_sel:DWORD src1_sel:WORD_1
	v_fma_f16 v98, v98, v79, v99
	v_mul_f16_sdwa v99, v100, v80 dst_sel:DWORD dst_unused:UNUSED_PAD src0_sel:DWORD src1_sel:WORD_1
	v_fma_f16 v100, v100, v80, v101
	v_mul_f16_sdwa v101, v102, v81 dst_sel:DWORD dst_unused:UNUSED_PAD src0_sel:DWORD src1_sel:WORD_1
	v_fma_f16 v102, v102, v81, v103
	v_mul_f16_sdwa v103, v104, v82 dst_sel:DWORD dst_unused:UNUSED_PAD src0_sel:DWORD src1_sel:WORD_1
	v_fma_f16 v104, v104, v82, v105
	v_mul_f16_sdwa v105, v106, v83 dst_sel:DWORD dst_unused:UNUSED_PAD src0_sel:DWORD src1_sel:WORD_1
	v_fma_f16 v39, v39, v74, -v108
	v_fma_f16 v40, v40, v75, -v89
	v_fma_f16 v106, v106, v83, v107
	v_fma_f16 v64, v64, v76, -v91
	v_fma_f16 v65, v65, v77, -v93
	;; [unrolled: 1-line block ×8, first 2 shown]
	v_pack_b32_f16 v39, v39, v88
	v_pack_b32_f16 v40, v40, v90
	v_pack_b32_f16 v64, v64, v92
	v_pack_b32_f16 v65, v65, v94
	v_pack_b32_f16 v66, v66, v96
	v_pack_b32_f16 v67, v67, v98
	v_pack_b32_f16 v68, v68, v100
	v_pack_b32_f16 v69, v69, v102
	v_pack_b32_f16 v70, v70, v104
	ds_write2_b32 v44, v39, v40 offset0:77 offset1:154
	ds_write2_b32 v84, v64, v65 offset0:103 offset1:180
	;; [unrolled: 1-line block ×4, first 2 shown]
	v_pack_b32_f16 v37, v71, v106
	ds_write2_b32 v85, v70, v37 offset0:53 offset1:130
	s_waitcnt lgkmcnt(5)
	v_lshrrev_b32_e32 v37, 16, v72
	s_waitcnt vmcnt(1)
	v_mul_f16_sdwa v38, v37, v86 dst_sel:DWORD dst_unused:UNUSED_PAD src0_sel:DWORD src1_sel:WORD_1
	v_mul_f16_sdwa v39, v72, v86 dst_sel:DWORD dst_unused:UNUSED_PAD src0_sel:DWORD src1_sel:WORD_1
	v_fma_f16 v38, v72, v86, -v38
	v_fma_f16 v37, v37, v86, v39
	v_pack_b32_f16 v37, v38, v37
	v_lshrrev_b32_e32 v38, 16, v73
	s_waitcnt vmcnt(0)
	v_mul_f16_sdwa v39, v38, v87 dst_sel:DWORD dst_unused:UNUSED_PAD src0_sel:DWORD src1_sel:WORD_1
	v_mul_f16_sdwa v40, v73, v87 dst_sel:DWORD dst_unused:UNUSED_PAD src0_sel:DWORD src1_sel:WORD_1
	v_fma_f16 v39, v73, v87, -v39
	v_fma_f16 v38, v38, v87, v40
	v_pack_b32_f16 v38, v39, v38
	ds_write2_b32 v23, v37, v38 offset0:79 offset1:156
.LBB0_13:
	s_or_b64 exec, exec, s[2:3]
	s_waitcnt lgkmcnt(0)
	s_barrier
	s_and_saveexec_b64 s[2:3], vcc
	s_cbranch_execz .LBB0_15
; %bb.14:
	v_add_u32_e32 v23, 0x200, v44
	ds_read_b32 v53, v44
	ds_read2_b32 v[27:28], v44 offset0:77 offset1:154
	ds_read2_b32 v[29:30], v23 offset0:103 offset1:180
	v_add_u32_e32 v23, 0x400, v44
	ds_read2_b32 v[35:36], v23 offset0:129 offset1:206
	v_add_u32_e32 v23, 0x800, v44
	;; [unrolled: 2-line block ×4, first 2 shown]
	ds_read2_b32 v[25:26], v23 offset0:79 offset1:156
	s_waitcnt lgkmcnt(5)
	v_lshrrev_b32_e32 v54, 16, v27
	v_lshrrev_b32_e32 v55, 16, v28
	s_waitcnt lgkmcnt(4)
	v_lshrrev_b32_e32 v56, 16, v29
	v_lshrrev_b32_e32 v58, 16, v30
	;; [unrolled: 3-line block ×6, first 2 shown]
.LBB0_15:
	s_or_b64 exec, exec, s[2:3]
	v_sub_f16_e32 v37, v54, v52
	v_add_f16_e32 v107, v26, v27
	v_add_f16_e32 v23, v52, v54
	s_movk_i32 s4, 0x3b15
	v_mul_f16_e32 v71, 0xb770, v37
	v_sub_f16_e32 v83, v55, v51
	v_sub_f16_e32 v108, v27, v26
	s_mov_b32 s2, 0xb770
	v_mul_f16_e32 v72, 0x3b15, v23
	v_fma_f16 v38, v107, s4, -v71
	s_movk_i32 s3, 0x388b
	v_add_f16_e32 v121, v25, v28
	v_add_f16_e32 v80, v51, v55
	v_mul_f16_e32 v75, 0xba95, v83
	v_add_f16_e32 v38, v38, v53
	v_fma_f16 v39, v108, s2, v72
	s_mov_b32 s17, 0xba95
	v_sub_f16_e32 v122, v28, v25
	v_mul_f16_e32 v76, 0x388b, v80
	v_fma_f16 v79, v121, s3, -v75
	v_add_f16_sdwa v39, v39, v53 dst_sel:DWORD dst_unused:UNUSED_PAD src0_sel:DWORD src1_sel:WORD_1
	v_mul_f16_e32 v73, 0xba95, v37
	v_add_f16_e32 v38, v79, v38
	v_fma_f16 v79, v122, s17, v76
	v_mul_f16_e32 v74, 0x388b, v23
	v_fma_f16 v40, v107, s3, -v73
	s_mov_b32 s14, 0xb5ac
	v_add_f16_e32 v39, v79, v39
	v_mul_f16_e32 v79, 0xbb7b, v83
	v_add_f16_e32 v40, v40, v53
	v_fma_f16 v64, v108, s17, v74
	s_mov_b32 s5, 0xbb7b
	v_mul_f16_e32 v81, 0xb5ac, v80
	v_fma_f16 v84, v121, s14, -v79
	v_add_f16_sdwa v64, v64, v53 dst_sel:DWORD dst_unused:UNUSED_PAD src0_sel:DWORD src1_sel:WORD_1
	s_movk_i32 s2, 0x2fb7
	v_mul_f16_e32 v77, 0xbbf1, v37
	v_add_f16_e32 v40, v84, v40
	v_fma_f16 v84, v122, s5, v81
	s_mov_b32 s18, 0xbbf1
	v_mul_f16_e32 v78, 0x2fb7, v23
	v_fma_f16 v65, v107, s2, -v77
	s_mov_b32 s19, 0xbbc4
	v_add_f16_e32 v64, v84, v64
	v_mul_f16_e32 v84, 0xb3a8, v83
	v_add_f16_e32 v65, v65, v53
	v_fma_f16 v66, v108, s18, v78
	v_mul_f16_e32 v82, 0xbb7b, v37
	s_mov_b32 s20, 0xb3a8
	v_mul_f16_e32 v87, 0xbbc4, v80
	v_fma_f16 v86, v121, s19, -v84
	v_add_f16_sdwa v66, v66, v53 dst_sel:DWORD dst_unused:UNUSED_PAD src0_sel:DWORD src1_sel:WORD_1
	v_mul_f16_e32 v85, 0xb5ac, v23
	v_fma_f16 v67, v107, s14, -v82
	s_mov_b32 s16, 0xb9fd
	v_mul_f16_e32 v97, 0xb3a8, v37
	v_add_f16_e32 v65, v86, v65
	v_fma_f16 v86, v122, s20, v87
	v_mul_f16_e32 v91, 0x394e, v83
	v_add_f16_e32 v67, v67, v53
	v_fma_f16 v68, v108, s5, v85
	v_mul_f16_e32 v88, 0xb94e, v37
	v_mul_f16_e32 v92, 0xb9fd, v23
	;; [unrolled: 1-line block ×3, first 2 shown]
	v_fma_f16 v23, v107, s19, -v97
	v_add_f16_e32 v66, v86, v66
	s_movk_i32 s21, 0x394e
	v_mul_f16_e32 v95, 0xb9fd, v80
	v_fma_f16 v86, v121, s16, -v91
	v_mul_f16_e32 v111, 0x3770, v83
	v_add_f16_sdwa v68, v68, v53 dst_sel:DWORD dst_unused:UNUSED_PAD src0_sel:DWORD src1_sel:WORD_1
	s_mov_b32 s15, 0xb94e
	v_fma_f16 v69, v107, s16, -v88
	v_add_f16_e32 v23, v23, v53
	v_fma_f16 v37, v108, s20, v102
	v_add_f16_e32 v67, v86, v67
	v_fma_f16 v86, v122, s21, v95
	v_mul_f16_e32 v100, 0x3bf1, v83
	v_mul_f16_e32 v105, 0x2fb7, v80
	s_movk_i32 s23, 0x3770
	v_mul_f16_e32 v116, 0x3b15, v80
	v_fma_f16 v80, v121, s4, -v111
	v_add_f16_e32 v69, v69, v53
	v_fma_f16 v70, v108, s15, v92
	v_add_f16_sdwa v37, v37, v53 dst_sel:DWORD dst_unused:UNUSED_PAD src0_sel:DWORD src1_sel:WORD_1
	v_add_f16_e32 v68, v86, v68
	s_movk_i32 s22, 0x3bf1
	v_fma_f16 v86, v121, s2, -v100
	v_add_f16_e32 v23, v80, v23
	v_fma_f16 v80, v122, s23, v116
	v_sub_f16_e32 v93, v56, v57
	v_add_f16_sdwa v70, v70, v53 dst_sel:DWORD dst_unused:UNUSED_PAD src0_sel:DWORD src1_sel:WORD_1
	v_add_f16_e32 v69, v86, v69
	v_fma_f16 v86, v122, s22, v105
	v_add_f16_e32 v37, v80, v37
	v_add_f16_e32 v131, v32, v29
	;; [unrolled: 1-line block ×3, first 2 shown]
	v_mul_f16_e32 v80, 0xbbf1, v93
	v_add_f16_e32 v70, v86, v70
	v_sub_f16_e32 v132, v29, v32
	v_mul_f16_e32 v83, 0x2fb7, v89
	v_fma_f16 v86, v131, s2, -v80
	v_add_f16_e32 v38, v86, v38
	v_fma_f16 v86, v132, s18, v83
	v_add_f16_e32 v39, v86, v39
	v_mul_f16_e32 v86, 0xb3a8, v93
	v_mul_f16_e32 v90, 0xbbc4, v89
	v_fma_f16 v94, v131, s19, -v86
	v_add_f16_e32 v40, v94, v40
	v_fma_f16 v94, v132, s20, v90
	v_add_f16_e32 v64, v94, v64
	v_mul_f16_e32 v94, 0x3b7b, v93
	s_movk_i32 s24, 0x3b7b
	v_mul_f16_e32 v98, 0xb5ac, v89
	v_fma_f16 v96, v131, s14, -v94
	v_add_f16_e32 v65, v96, v65
	v_fma_f16 v96, v132, s24, v98
	v_mul_f16_e32 v103, 0x3770, v93
	v_add_f16_e32 v66, v96, v66
	v_mul_f16_e32 v109, 0x3b15, v89
	v_fma_f16 v96, v131, s4, -v103
	v_mul_f16_e32 v125, 0xb94e, v93
	v_add_f16_e32 v67, v96, v67
	v_fma_f16 v96, v132, s23, v109
	v_mul_f16_e32 v114, 0xba95, v93
	v_mul_f16_e32 v119, 0x388b, v89
	;; [unrolled: 1-line block ×3, first 2 shown]
	v_fma_f16 v89, v131, s16, -v125
	v_add_f16_e32 v68, v96, v68
	v_fma_f16 v96, v131, s3, -v114
	v_add_f16_e32 v23, v89, v23
	v_fma_f16 v89, v132, s15, v129
	v_sub_f16_e32 v104, v58, v59
	v_add_f16_e32 v69, v96, v69
	v_fma_f16 v96, v132, s17, v119
	v_add_f16_e32 v37, v89, v37
	v_add_f16_e32 v139, v31, v30
	;; [unrolled: 1-line block ×3, first 2 shown]
	v_mul_f16_e32 v89, 0xbb7b, v104
	v_add_f16_e32 v70, v96, v70
	v_sub_f16_e32 v140, v30, v31
	v_mul_f16_e32 v93, 0xb5ac, v99
	v_fma_f16 v96, v139, s14, -v89
	v_add_f16_e32 v38, v96, v38
	v_fma_f16 v96, v140, s5, v93
	v_add_f16_e32 v39, v96, v39
	v_mul_f16_e32 v96, 0x394e, v104
	v_mul_f16_e32 v101, 0xb9fd, v99
	v_fma_f16 v106, v139, s16, -v96
	v_add_f16_e32 v40, v106, v40
	v_fma_f16 v106, v140, s21, v101
	v_add_f16_e32 v64, v106, v64
	v_mul_f16_e32 v106, 0x3770, v104
	v_mul_f16_e32 v112, 0x3b15, v99
	v_fma_f16 v110, v139, s4, -v106
	v_add_f16_e32 v65, v110, v65
	v_fma_f16 v110, v140, s23, v112
	v_mul_f16_e32 v117, 0xbbf1, v104
	v_add_f16_e32 v66, v110, v66
	v_mul_f16_e32 v123, 0x2fb7, v99
	v_fma_f16 v110, v139, s2, -v117
	v_mul_f16_e32 v137, 0x3a95, v104
	v_add_f16_e32 v67, v110, v67
	v_fma_f16 v110, v140, s18, v123
	v_mul_f16_e32 v127, 0x33a8, v104
	v_mul_f16_e32 v133, 0xbbc4, v99
	s_movk_i32 s21, 0x3a95
	v_mul_f16_e32 v141, 0x388b, v99
	v_fma_f16 v99, v139, s3, -v137
	v_add_f16_e32 v68, v110, v68
	s_movk_i32 s18, 0x33a8
	v_fma_f16 v110, v139, s19, -v127
	v_add_f16_e32 v23, v99, v23
	v_fma_f16 v99, v140, s21, v141
	v_sub_f16_e32 v118, v60, v61
	v_add_f16_e32 v69, v110, v69
	v_fma_f16 v110, v140, s18, v133
	v_add_f16_e32 v37, v99, v37
	v_add_f16_e32 v146, v34, v35
	v_add_f16_e32 v113, v61, v60
	v_mul_f16_e32 v99, 0xb94e, v118
	v_add_f16_e32 v70, v110, v70
	v_sub_f16_e32 v147, v35, v34
	v_mul_f16_e32 v104, 0xb9fd, v113
	v_fma_f16 v110, v146, s16, -v99
	v_add_f16_e32 v38, v110, v38
	v_fma_f16 v110, v147, s15, v104
	v_add_f16_e32 v39, v110, v39
	v_mul_f16_e32 v110, 0x3bf1, v118
	v_mul_f16_e32 v115, 0x2fb7, v113
	v_fma_f16 v120, v146, s2, -v110
	v_add_f16_e32 v40, v120, v40
	v_fma_f16 v120, v147, s22, v115
	v_add_f16_e32 v64, v120, v64
	v_mul_f16_e32 v120, 0xba95, v118
	v_mul_f16_e32 v126, 0x388b, v113
	v_fma_f16 v124, v146, s3, -v120
	v_add_f16_e32 v142, v124, v65
	v_fma_f16 v65, v147, s17, v126
	v_mul_f16_e32 v130, 0x33a8, v118
	v_add_f16_e32 v144, v65, v66
	v_mul_f16_e32 v135, 0xbbc4, v113
	v_fma_f16 v65, v146, s19, -v130
	v_add_f16_e32 v67, v65, v67
	v_fma_f16 v65, v147, s18, v135
	v_mul_f16_e32 v138, 0x3770, v118
	v_add_f16_e32 v68, v65, v68
	;; [unrolled: 6-line block ×3, first 2 shown]
	v_mul_f16_e32 v149, 0xb5ac, v113
	v_fma_f16 v65, v146, s14, -v145
	v_add_f16_e32 v154, v63, v62
	v_add_f16_e32 v155, v65, v23
	v_fma_f16 v23, v147, s5, v149
	v_sub_f16_e32 v152, v36, v33
	v_sub_f16_e32 v157, v62, v63
	v_mul_f16_e32 v118, 0xbbc4, v154
	v_add_f16_e32 v156, v23, v37
	v_add_f16_e32 v151, v33, v36
	v_fma_f16 v37, v152, s20, v118
	v_mul_f16_e32 v124, 0x3770, v157
	v_add_f16_e32 v65, v37, v39
	v_mul_f16_e32 v128, 0x3b15, v154
	v_fma_f16 v37, v151, s4, -v124
	v_add_f16_e32 v40, v37, v40
	v_fma_f16 v37, v152, s23, v128
	v_mul_f16_e32 v134, 0xb94e, v157
	v_add_f16_e32 v66, v37, v64
	v_mul_f16_e32 v136, 0xb9fd, v154
	v_fma_f16 v37, v151, s16, -v134
	v_mul_f16_e32 v113, 0xb3a8, v157
	v_add_f16_e32 v39, v37, v142
	v_fma_f16 v37, v152, s15, v136
	v_mul_f16_e32 v142, 0x3a95, v157
	v_fma_f16 v23, v151, s19, -v113
	v_add_f16_e32 v69, v37, v144
	v_mul_f16_e32 v144, 0x388b, v154
	v_fma_f16 v37, v151, s3, -v142
	v_add_f16_e32 v23, v23, v38
	v_add_f16_e32 v38, v37, v67
	v_fma_f16 v37, v152, s21, v144
	v_mul_f16_e32 v148, 0xbb7b, v157
	v_add_f16_e32 v67, v37, v68
	v_mul_f16_e32 v150, 0xb5ac, v154
	v_fma_f16 v37, v151, s14, -v148
	v_add_f16_e32 v37, v37, v153
	v_fma_f16 v64, v152, s5, v150
	v_mul_f16_e32 v153, 0x3bf1, v157
	v_mul_f16_e32 v154, 0x2fb7, v154
	v_add_f16_e32 v70, v64, v70
	v_fma_f16 v64, v151, s2, -v153
	v_fma_f16 v68, v152, s22, v154
	v_add_f16_e32 v64, v64, v155
	v_add_f16_e32 v68, v68, v156
	s_barrier
	s_and_saveexec_b64 s[2:3], vcc
	s_cbranch_execz .LBB0_17
; %bb.16:
	v_add_f16_sdwa v54, v54, v53 dst_sel:DWORD dst_unused:UNUSED_PAD src0_sel:DWORD src1_sel:WORD_1
	v_add_f16_e32 v27, v27, v53
	v_add_f16_e32 v54, v55, v54
	v_add_f16_e32 v27, v28, v27
	v_add_f16_e32 v54, v56, v54
	v_add_f16_e32 v27, v29, v27
	v_add_f16_e32 v54, v58, v54
	v_add_f16_e32 v27, v30, v27
	v_add_f16_e32 v54, v60, v54
	v_add_f16_e32 v27, v35, v27
	v_mul_f16_e32 v155, 0x3b15, v107
	v_mul_f16_e32 v156, 0xb770, v108
	;; [unrolled: 1-line block ×4, first 2 shown]
	v_add_f16_e32 v54, v62, v54
	v_add_f16_e32 v27, v36, v27
	v_mul_f16_e32 v159, 0x2fb7, v107
	v_mul_f16_e32 v160, 0xbbf1, v108
	;; [unrolled: 1-line block ×8, first 2 shown]
	v_sub_f16_e32 v74, v74, v158
	v_add_f16_e32 v73, v157, v73
	v_sub_f16_e32 v72, v72, v156
	v_add_f16_e32 v71, v155, v71
	v_add_f16_e32 v54, v63, v54
	;; [unrolled: 1-line block ×3, first 2 shown]
	v_mul_f16_e32 v163, 0xb9fd, v107
	v_mul_f16_e32 v164, 0xb94e, v108
	;; [unrolled: 1-line block ×12, first 2 shown]
	v_sub_f16_e32 v85, v85, v162
	v_add_f16_e32 v82, v161, v82
	v_sub_f16_e32 v78, v78, v160
	v_add_f16_e32 v77, v159, v77
	v_add_f16_sdwa v74, v74, v53 dst_sel:DWORD dst_unused:UNUSED_PAD src0_sel:DWORD src1_sel:WORD_1
	v_sub_f16_e32 v81, v81, v168
	v_add_f16_e32 v73, v73, v53
	v_add_f16_e32 v79, v167, v79
	v_add_f16_sdwa v72, v72, v53 dst_sel:DWORD dst_unused:UNUSED_PAD src0_sel:DWORD src1_sel:WORD_1
	v_sub_f16_e32 v76, v76, v166
	v_add_f16_e32 v71, v71, v53
	v_add_f16_e32 v75, v165, v75
	;; [unrolled: 1-line block ×4, first 2 shown]
	v_mul_f16_e32 v173, 0x2fb7, v121
	v_mul_f16_e32 v174, 0x3bf1, v122
	;; [unrolled: 1-line block ×12, first 2 shown]
	v_sub_f16_e32 v102, v102, v108
	v_add_f16_e32 v97, v107, v97
	v_sub_f16_e32 v92, v92, v164
	v_add_f16_e32 v88, v163, v88
	v_add_f16_sdwa v85, v85, v53 dst_sel:DWORD dst_unused:UNUSED_PAD src0_sel:DWORD src1_sel:WORD_1
	v_sub_f16_e32 v95, v95, v172
	v_add_f16_e32 v82, v82, v53
	v_add_f16_e32 v91, v171, v91
	v_add_f16_sdwa v78, v78, v53 dst_sel:DWORD dst_unused:UNUSED_PAD src0_sel:DWORD src1_sel:WORD_1
	v_sub_f16_e32 v87, v87, v170
	v_add_f16_e32 v77, v77, v53
	v_add_f16_e32 v84, v169, v84
	v_add_f16_e32 v74, v81, v74
	v_sub_f16_e32 v81, v90, v178
	v_add_f16_e32 v73, v79, v73
	v_add_f16_e32 v79, v177, v86
	v_add_f16_e32 v72, v76, v72
	;; [unrolled: 4-line block ×3, first 2 shown]
	v_add_f16_e32 v27, v31, v27
	v_mul_f16_e32 v183, 0x388b, v131
	v_mul_f16_e32 v184, 0xba95, v132
	;; [unrolled: 1-line block ×12, first 2 shown]
	v_add_f16_sdwa v102, v102, v53 dst_sel:DWORD dst_unused:UNUSED_PAD src0_sel:DWORD src1_sel:WORD_1
	v_sub_f16_e32 v108, v116, v122
	v_add_f16_e32 v97, v97, v53
	v_add_f16_e32 v107, v121, v111
	v_add_f16_sdwa v92, v92, v53 dst_sel:DWORD dst_unused:UNUSED_PAD src0_sel:DWORD src1_sel:WORD_1
	v_sub_f16_e32 v105, v105, v174
	v_add_f16_e32 v88, v88, v53
	v_add_f16_e32 v100, v173, v100
	v_add_f16_e32 v85, v95, v85
	v_sub_f16_e32 v95, v109, v182
	v_add_f16_e32 v82, v91, v82
	v_add_f16_e32 v91, v181, v103
	v_add_f16_e32 v78, v87, v78
	;; [unrolled: 4-line block ×5, first 2 shown]
	v_add_f16_e32 v27, v32, v27
	v_mul_f16_e32 v193, 0xbbc4, v139
	v_mul_f16_e32 v194, 0x33a8, v140
	v_mul_f16_e32 v139, 0x388b, v139
	v_mul_f16_e32 v140, 0x3a95, v140
	v_mul_f16_e32 v199, 0x388b, v146
	v_mul_f16_e32 v200, 0xba95, v147
	v_mul_f16_e32 v201, 0xbbc4, v146
	v_mul_f16_e32 v202, 0x33a8, v147
	v_mul_f16_e32 v205, 0xbbc4, v151
	v_mul_f16_e32 v206, 0xb3a8, v152
	v_mul_f16_e32 v207, 0x3b15, v151
	v_mul_f16_e32 v208, 0x3770, v152
	v_add_f16_e32 v102, v108, v102
	v_sub_f16_e32 v108, v129, v132
	v_add_f16_e32 v97, v107, v97
	v_add_f16_e32 v107, v131, v125
	v_add_f16_e32 v92, v105, v92
	v_sub_f16_e32 v105, v119, v184
	v_add_f16_e32 v88, v100, v88
	v_add_f16_e32 v100, v183, v114
	;; [unrolled: 4-line block ×6, first 2 shown]
	v_add_f16_e32 v51, v51, v54
	v_add_f16_e32 v25, v25, v27
	v_mul_f16_e32 v203, 0x3b15, v146
	v_mul_f16_e32 v204, 0x3770, v147
	;; [unrolled: 1-line block ×8, first 2 shown]
	v_add_f16_e32 v102, v108, v102
	v_sub_f16_e32 v108, v141, v140
	v_add_f16_e32 v97, v107, v97
	v_add_f16_e32 v107, v139, v137
	v_add_f16_e32 v92, v105, v92
	v_sub_f16_e32 v105, v133, v194
	v_add_f16_e32 v88, v100, v88
	v_add_f16_e32 v100, v193, v127
	;; [unrolled: 4-line block ×6, first 2 shown]
	v_add_f16_sdwa v51, v52, v51 dst_sel:WORD_1 dst_unused:UNUSED_PAD src0_sel:DWORD src1_sel:DWORD
	v_add_f16_e32 v25, v26, v25
	v_mul_f16_e32 v213, 0xb5ac, v151
	v_mul_f16_e32 v214, 0xbb7b, v152
	;; [unrolled: 1-line block ×4, first 2 shown]
	v_add_f16_e32 v102, v108, v102
	v_sub_f16_e32 v108, v149, v147
	v_add_f16_e32 v97, v107, v97
	v_add_f16_e32 v107, v146, v145
	v_add_f16_e32 v92, v105, v92
	v_sub_f16_e32 v105, v143, v204
	v_add_f16_e32 v88, v100, v88
	v_add_f16_e32 v100, v203, v138
	;; [unrolled: 4-line block ×4, first 2 shown]
	v_add_f16_e32 v74, v81, v74
	v_add_f16_e32 v73, v79, v73
	;; [unrolled: 1-line block ×4, first 2 shown]
	v_or_b32_e32 v25, v51, v25
	v_lshl_add_u32 v26, v46, 2, v43
	v_add_f16_e32 v102, v108, v102
	v_sub_f16_e32 v108, v154, v152
	v_add_f16_e32 v97, v107, v97
	v_add_f16_e32 v107, v151, v153
	;; [unrolled: 1-line block ×3, first 2 shown]
	v_sub_f16_e32 v105, v150, v214
	v_add_f16_e32 v88, v100, v88
	v_add_f16_e32 v100, v213, v148
	;; [unrolled: 1-line block ×6, first 2 shown]
	ds_write_b32 v26, v25
	v_pack_b32_f16 v25, v73, v74
	v_pack_b32_f16 v27, v71, v72
	v_add_f16_e32 v102, v108, v102
	v_add_f16_e32 v97, v107, v97
	;; [unrolled: 1-line block ×4, first 2 shown]
	ds_write2_b32 v26, v27, v25 offset0:1 offset1:2
	v_pack_b32_f16 v25, v82, v85
	v_pack_b32_f16 v27, v77, v78
	ds_write2_b32 v26, v27, v25 offset0:3 offset1:4
	v_pack_b32_f16 v25, v97, v102
	v_pack_b32_f16 v27, v88, v92
	s_mov_b32 s4, 0x5040100
	ds_write2_b32 v26, v27, v25 offset0:5 offset1:6
	v_perm_b32 v25, v70, v37, s4
	v_perm_b32 v27, v68, v64, s4
	ds_write2_b32 v26, v27, v25 offset0:7 offset1:8
	v_perm_b32 v25, v69, v39, s4
	v_perm_b32 v27, v67, v38, s4
	;; [unrolled: 3-line block ×3, first 2 shown]
	ds_write2_b32 v26, v27, v25 offset0:11 offset1:12
.LBB0_17:
	s_or_b64 exec, exec, s[2:3]
	v_add_u32_e32 v27, 0x400, v45
	v_add_u32_e32 v32, 0x800, v45
	s_waitcnt lgkmcnt(0)
	s_barrier
	ds_read2_b32 v[25:26], v45 offset1:143
	ds_read2_b32 v[29:30], v27 offset0:30 offset1:173
	ds_read2_b32 v[27:28], v32 offset0:60 offset1:203
	ds_read_b32 v31, v45 offset:3432
	s_and_saveexec_b64 s[2:3], s[0:1]
	s_cbranch_execz .LBB0_19
; %bb.18:
	v_add_u32_e32 v23, 0x200, v45
	ds_read_b32 v64, v45 offset:364
	ds_read2_b32 v[37:38], v23 offset0:106 offset1:249
	ds_read2_b32 v[39:40], v32 offset0:8 offset1:151
	v_add_u32_e32 v23, 0xc00, v45
	ds_read2_b32 v[23:24], v23 offset0:38 offset1:181
	s_waitcnt lgkmcnt(3)
	v_lshrrev_b32_e32 v68, 16, v64
	s_waitcnt lgkmcnt(2)
	v_lshrrev_b32_e32 v70, 16, v37
	v_lshrrev_b32_e32 v67, 16, v38
	s_waitcnt lgkmcnt(1)
	v_lshrrev_b32_e32 v69, 16, v39
	;; [unrolled: 3-line block ×3, first 2 shown]
	v_lshrrev_b32_e32 v49, 16, v24
.LBB0_19:
	s_or_b64 exec, exec, s[2:3]
	s_waitcnt lgkmcnt(3)
	v_lshrrev_b32_e32 v32, 16, v26
	v_mul_f16_sdwa v51, v4, v32 dst_sel:DWORD dst_unused:UNUSED_PAD src0_sel:WORD_1 src1_sel:DWORD
	s_waitcnt lgkmcnt(2)
	v_lshrrev_b32_e32 v33, 16, v29
	v_fma_f16 v51, v4, v26, v51
	v_mul_f16_sdwa v26, v4, v26 dst_sel:DWORD dst_unused:UNUSED_PAD src0_sel:WORD_1 src1_sel:DWORD
	v_fma_f16 v4, v4, v32, -v26
	v_mul_f16_sdwa v26, v5, v33 dst_sel:DWORD dst_unused:UNUSED_PAD src0_sel:WORD_1 src1_sel:DWORD
	v_lshrrev_b32_e32 v34, 16, v30
	v_fma_f16 v26, v5, v29, v26
	v_mul_f16_sdwa v29, v5, v29 dst_sel:DWORD dst_unused:UNUSED_PAD src0_sel:WORD_1 src1_sel:DWORD
	v_fma_f16 v5, v5, v33, -v29
	v_mul_f16_sdwa v29, v6, v34 dst_sel:DWORD dst_unused:UNUSED_PAD src0_sel:WORD_1 src1_sel:DWORD
	s_waitcnt lgkmcnt(1)
	v_lshrrev_b32_e32 v35, 16, v27
	v_fma_f16 v29, v6, v30, v29
	v_mul_f16_sdwa v30, v6, v30 dst_sel:DWORD dst_unused:UNUSED_PAD src0_sel:WORD_1 src1_sel:DWORD
	v_fma_f16 v6, v6, v34, -v30
	v_mul_f16_sdwa v30, v7, v35 dst_sel:DWORD dst_unused:UNUSED_PAD src0_sel:WORD_1 src1_sel:DWORD
	v_lshrrev_b32_e32 v36, 16, v28
	v_fma_f16 v30, v7, v27, v30
	v_mul_f16_sdwa v27, v7, v27 dst_sel:DWORD dst_unused:UNUSED_PAD src0_sel:WORD_1 src1_sel:DWORD
	v_fma_f16 v7, v7, v35, -v27
	v_mul_f16_sdwa v27, v19, v36 dst_sel:DWORD dst_unused:UNUSED_PAD src0_sel:WORD_1 src1_sel:DWORD
	s_waitcnt lgkmcnt(0)
	v_lshrrev_b32_e32 v46, 16, v31
	v_fma_f16 v27, v19, v28, v27
	v_mul_f16_sdwa v28, v19, v28 dst_sel:DWORD dst_unused:UNUSED_PAD src0_sel:WORD_1 src1_sel:DWORD
	v_fma_f16 v19, v19, v36, -v28
	v_mul_f16_sdwa v28, v20, v46 dst_sel:DWORD dst_unused:UNUSED_PAD src0_sel:WORD_1 src1_sel:DWORD
	v_fma_f16 v28, v20, v31, v28
	v_mul_f16_sdwa v31, v20, v31 dst_sel:DWORD dst_unused:UNUSED_PAD src0_sel:WORD_1 src1_sel:DWORD
	v_fma_f16 v20, v20, v46, -v31
	v_add_f16_e32 v31, v51, v28
	v_add_f16_e32 v32, v4, v20
	v_sub_f16_e32 v4, v4, v20
	v_add_f16_e32 v20, v26, v27
	v_add_f16_e32 v33, v5, v19
	v_sub_f16_e32 v26, v26, v27
	v_sub_f16_e32 v5, v5, v19
	v_add_f16_e32 v19, v29, v30
	v_add_f16_e32 v27, v6, v7
	v_sub_f16_e32 v29, v30, v29
	;; [unrolled: 4-line block ×3, first 2 shown]
	v_sub_f16_e32 v34, v20, v31
	v_sub_f16_e32 v31, v31, v19
	v_sub_f16_e32 v20, v19, v20
	v_add_f16_e32 v36, v29, v26
	v_add_f16_e32 v7, v19, v7
	;; [unrolled: 1-line block ×3, first 2 shown]
	v_sub_f16_e32 v35, v33, v32
	v_sub_f16_e32 v32, v32, v27
	;; [unrolled: 1-line block ×3, first 2 shown]
	v_add_f16_e32 v46, v6, v5
	v_sub_f16_e32 v51, v29, v26
	v_sub_f16_e32 v52, v6, v5
	;; [unrolled: 1-line block ×5, first 2 shown]
	v_add_f16_e32 v27, v36, v28
	v_add_f16_e32 v28, v7, v25
	v_add_f16_sdwa v25, v19, v25 dst_sel:DWORD dst_unused:UNUSED_PAD src0_sel:DWORD src1_sel:WORD_1
	v_sub_f16_e32 v6, v4, v6
	v_add_f16_e32 v4, v46, v4
	v_lshlrev_b32_e32 v30, 16, v25
	v_mul_f16_e32 v31, 0x3a52, v31
	v_mul_f16_e32 v32, 0x3a52, v32
	s_movk_i32 s17, 0x2b26
	v_mul_f16_e32 v36, 0x2b26, v20
	v_mul_f16_e32 v46, 0x2b26, v33
	;; [unrolled: 1-line block ×4, first 2 shown]
	s_mov_b32 s4, 0xbb00
	v_mul_f16_e32 v53, 0xbb00, v26
	v_mul_f16_e32 v54, 0xbb00, v5
	s_mov_b32 s18, 0xbcab
	s_movk_i32 s5, 0x39e0
	s_mov_b32 s14, 0xb9e0
	s_mov_b32 s19, 0xb574
	s_movk_i32 s15, 0x3574
	v_or_b32_e32 v30, v30, v28
	v_fma_f16 v7, v7, s18, v28
	v_fma_f16 v19, v19, s18, v25
	v_fma_f16 v20, v20, s17, v31
	v_fma_f16 v25, v33, s17, v32
	v_fma_f16 v28, v34, s5, -v36
	v_fma_f16 v33, v35, s5, -v46
	;; [unrolled: 1-line block ×4, first 2 shown]
	v_fma_f16 v34, v29, s19, v51
	v_fma_f16 v35, v6, s19, v52
	v_fma_f16 v26, v26, s4, -v51
	v_fma_f16 v5, v5, s4, -v52
	;; [unrolled: 1-line block ×4, first 2 shown]
	s_mov_b32 s16, 0xb70e
	v_add_f16_e32 v20, v20, v7
	v_add_f16_e32 v25, v25, v19
	;; [unrolled: 1-line block ×6, first 2 shown]
	v_fma_f16 v31, v27, s16, v34
	v_fma_f16 v32, v4, s16, v35
	;; [unrolled: 1-line block ×6, first 2 shown]
	v_add_f16_e32 v6, v32, v20
	v_sub_f16_e32 v29, v25, v31
	v_add_f16_e32 v34, v4, v7
	v_sub_f16_e32 v36, v28, v5
	v_add_f16_e32 v46, v26, v33
	v_add_f16_e32 v5, v5, v28
	v_sub_f16_e32 v26, v33, v26
	v_sub_f16_e32 v4, v7, v4
	v_add_f16_e32 v7, v27, v19
	v_sub_f16_e32 v35, v19, v27
	v_sub_f16_e32 v19, v20, v32
	v_add_f16_e32 v20, v31, v25
	v_pack_b32_f16 v6, v6, v29
	v_pack_b32_f16 v5, v5, v26
	;; [unrolled: 1-line block ×3, first 2 shown]
	s_barrier
	ds_write2_b32 v50, v30, v6 offset1:13
	v_pack_b32_f16 v6, v34, v35
	v_pack_b32_f16 v25, v36, v46
	ds_write2_b32 v50, v5, v4 offset0:52 offset1:65
	v_pack_b32_f16 v4, v19, v20
	ds_write2_b32 v50, v6, v25 offset0:26 offset1:39
	ds_write_b32 v50, v4 offset:312
	s_and_saveexec_b64 s[2:3], s[0:1]
	s_cbranch_execz .LBB0_21
; %bb.20:
	v_mul_f16_sdwa v5, v18, v49 dst_sel:DWORD dst_unused:UNUSED_PAD src0_sel:WORD_1 src1_sel:DWORD
	v_mul_f16_sdwa v27, v17, v65 dst_sel:DWORD dst_unused:UNUSED_PAD src0_sel:WORD_1 src1_sel:DWORD
	v_fma_f16 v5, v18, v24, v5
	v_mul_f16_sdwa v19, v2, v69 dst_sel:DWORD dst_unused:UNUSED_PAD src0_sel:WORD_1 src1_sel:DWORD
	v_fma_f16 v27, v17, v23, v27
	v_mul_f16_sdwa v24, v18, v24 dst_sel:DWORD dst_unused:UNUSED_PAD src0_sel:WORD_1 src1_sel:DWORD
	v_mul_f16_sdwa v31, v2, v39 dst_sel:DWORD dst_unused:UNUSED_PAD src0_sel:WORD_1 src1_sel:DWORD
	;; [unrolled: 1-line block ×5, first 2 shown]
	v_fma_f16 v19, v2, v39, v19
	v_mul_f16_sdwa v26, v1, v67 dst_sel:DWORD dst_unused:UNUSED_PAD src0_sel:WORD_1 src1_sel:DWORD
	v_fma_f16 v18, v18, v49, -v24
	v_mul_f16_sdwa v24, v0, v37 dst_sel:DWORD dst_unused:UNUSED_PAD src0_sel:WORD_1 src1_sel:DWORD
	v_fma_f16 v2, v2, v69, -v31
	;; [unrolled: 2-line block ×3, first 2 shown]
	v_mul_f16_sdwa v23, v1, v38 dst_sel:DWORD dst_unused:UNUSED_PAD src0_sel:WORD_1 src1_sel:DWORD
	v_fma_f16 v4, v0, v37, v4
	v_fma_f16 v7, v3, v40, v7
	;; [unrolled: 1-line block ×3, first 2 shown]
	v_fma_f16 v0, v0, v70, -v24
	v_fma_f16 v3, v3, v66, -v31
	;; [unrolled: 1-line block ×3, first 2 shown]
	v_add_f16_e32 v24, v18, v0
	v_add_f16_e32 v31, v2, v3
	;; [unrolled: 1-line block ×3, first 2 shown]
	v_sub_f16_e32 v0, v0, v18
	v_sub_f16_e32 v2, v3, v2
	;; [unrolled: 1-line block ×6, first 2 shown]
	v_add_f16_e32 v4, v5, v4
	v_add_f16_e32 v5, v19, v7
	;; [unrolled: 1-line block ×3, first 2 shown]
	v_sub_f16_e32 v3, v0, v2
	v_sub_f16_e32 v17, v2, v1
	v_add_f16_e32 v2, v2, v1
	v_sub_f16_e32 v25, v6, v20
	v_sub_f16_e32 v29, v20, v28
	v_add_f16_e32 v20, v20, v28
	v_add_f16_e32 v35, v23, v24
	;; [unrolled: 1-line block ×4, first 2 shown]
	v_sub_f16_e32 v0, v1, v0
	v_add_f16_e32 v20, v20, v6
	v_sub_f16_e32 v32, v24, v31
	v_sub_f16_e32 v33, v31, v23
	v_add_f16_e32 v31, v31, v35
	v_sub_f16_e32 v7, v4, v5
	v_sub_f16_e32 v26, v5, v19
	v_add_f16_e32 v5, v5, v37
	v_mul_f16_e32 v17, 0x3846, v17
	v_sub_f16_e32 v6, v28, v6
	v_mul_f16_e32 v1, 0xbb00, v0
	v_mul_f16_e32 v29, 0x3846, v29
	;; [unrolled: 1-line block ×4, first 2 shown]
	v_add_f16_e32 v35, v68, v31
	v_mul_f16_e32 v7, 0x3a52, v7
	v_mul_f16_e32 v27, 0x2b26, v26
	v_add_f16_e32 v37, v64, v5
	v_fma_f16 v18, v3, s19, v17
	v_mul_f16_e32 v28, 0xbb00, v6
	v_sub_f16_e32 v23, v23, v24
	v_sub_f16_e32 v4, v19, v4
	v_fma_f16 v1, v3, s15, -v1
	v_fma_f16 v0, v0, s4, -v17
	v_fma_f16 v30, v25, s19, v29
	v_fma_f16 v31, v31, s18, v35
	;; [unrolled: 1-line block ×5, first 2 shown]
	v_fma_f16 v25, v25, s15, -v28
	v_fma_f16 v24, v23, s14, -v32
	;; [unrolled: 1-line block ×3, first 2 shown]
	v_fma_f16 v1, v2, s16, v1
	v_fma_f16 v19, v23, s5, -v34
	v_fma_f16 v6, v6, s4, -v29
	v_fma_f16 v0, v2, s16, v0
	v_fma_f16 v2, v4, s5, -v27
	v_fma_f16 v25, v20, s16, v25
	v_add_f16_e32 v24, v24, v31
	v_add_f16_e32 v7, v7, v5
	;; [unrolled: 1-line block ×3, first 2 shown]
	v_fma_f16 v6, v20, s16, v6
	v_add_f16_e32 v2, v2, v5
	v_mul_u32_u24_e32 v17, 0x5b, v47
	v_fma_f16 v33, v33, s17, v32
	v_add_f16_e32 v26, v26, v5
	v_sub_f16_e32 v3, v7, v1
	v_add_f16_e32 v4, v0, v2
	v_add_f16_e32 v5, v6, v19
	v_sub_f16_e32 v0, v2, v0
	v_sub_f16_e32 v2, v24, v25
	v_add_f16_e32 v1, v1, v7
	v_add_u32_sdwa v17, v17, v48 dst_sel:DWORD dst_unused:UNUSED_PAD src0_sel:DWORD src1_sel:BYTE_0
	v_fma_f16 v30, v20, s16, v30
	v_add_f16_e32 v33, v33, v31
	v_add_f16_e32 v28, v25, v24
	v_sub_f16_e32 v20, v19, v6
	v_lshl_add_u32 v17, v17, 2, v43
	v_pack_b32_f16 v1, v1, v2
	v_pack_b32_f16 v0, v0, v5
	v_add_f16_e32 v36, v30, v33
	v_sub_f16_e32 v38, v26, v18
	v_sub_f16_e32 v6, v33, v30
	v_add_f16_e32 v7, v18, v26
	ds_write2_b32 v17, v1, v0 offset0:26 offset1:39
	v_pack_b32_f16 v0, v4, v20
	v_pack_b32_f16 v1, v3, v28
	;; [unrolled: 1-line block ×4, first 2 shown]
	ds_write2_b32 v17, v0, v1 offset0:52 offset1:65
	v_pack_b32_f16 v0, v38, v36
	ds_write2_b32 v17, v18, v6 offset1:13
	ds_write_b32 v17, v0 offset:312
.LBB0_21:
	s_or_b64 exec, exec, s[2:3]
	s_waitcnt lgkmcnt(0)
	s_barrier
	ds_read2_b32 v[0:1], v45 offset0:91 offset1:182
	v_add_u32_e32 v2, 0x400, v45
	ds_read2_b32 v[2:3], v2 offset0:17 offset1:108
	ds_read_b32 v19, v45
	v_add_u32_e32 v4, 0x600, v45
	ds_read2_b32 v[4:5], v4 offset0:71 offset1:162
	s_waitcnt lgkmcnt(3)
	v_lshrrev_b32_e32 v20, 16, v0
	v_mul_f16_sdwa v32, v8, v20 dst_sel:DWORD dst_unused:UNUSED_PAD src0_sel:WORD_1 src1_sel:DWORD
	v_lshrrev_b32_e32 v23, 16, v1
	v_fma_f16 v32, v8, v0, v32
	v_mul_f16_sdwa v0, v8, v0 dst_sel:DWORD dst_unused:UNUSED_PAD src0_sel:WORD_1 src1_sel:DWORD
	v_fma_f16 v0, v8, v20, -v0
	v_mul_f16_sdwa v8, v9, v23 dst_sel:DWORD dst_unused:UNUSED_PAD src0_sel:WORD_1 src1_sel:DWORD
	s_waitcnt lgkmcnt(2)
	v_lshrrev_b32_e32 v24, 16, v2
	v_fma_f16 v8, v9, v1, v8
	v_mul_f16_sdwa v1, v9, v1 dst_sel:DWORD dst_unused:UNUSED_PAD src0_sel:WORD_1 src1_sel:DWORD
	v_fma_f16 v1, v9, v23, -v1
	v_mul_f16_sdwa v9, v10, v24 dst_sel:DWORD dst_unused:UNUSED_PAD src0_sel:WORD_1 src1_sel:DWORD
	v_lshrrev_b32_e32 v25, 16, v3
	v_add_u32_e32 v6, 0x800, v45
	v_fma_f16 v9, v10, v2, v9
	v_mul_f16_sdwa v2, v10, v2 dst_sel:DWORD dst_unused:UNUSED_PAD src0_sel:WORD_1 src1_sel:DWORD
	ds_read2_b32 v[6:7], v6 offset0:125 offset1:216
	v_fma_f16 v2, v10, v24, -v2
	v_mul_f16_sdwa v10, v11, v25 dst_sel:DWORD dst_unused:UNUSED_PAD src0_sel:WORD_1 src1_sel:DWORD
	s_waitcnt lgkmcnt(1)
	v_lshrrev_b32_e32 v26, 16, v4
	v_fma_f16 v10, v11, v3, v10
	v_mul_f16_sdwa v3, v11, v3 dst_sel:DWORD dst_unused:UNUSED_PAD src0_sel:WORD_1 src1_sel:DWORD
	v_fma_f16 v3, v11, v25, -v3
	v_mul_f16_sdwa v11, v12, v26 dst_sel:DWORD dst_unused:UNUSED_PAD src0_sel:WORD_1 src1_sel:DWORD
	v_add_u32_e32 v17, 0xc00, v45
	v_lshrrev_b32_e32 v27, 16, v5
	v_fma_f16 v11, v12, v4, v11
	v_mul_f16_sdwa v4, v12, v4 dst_sel:DWORD dst_unused:UNUSED_PAD src0_sel:WORD_1 src1_sel:DWORD
	ds_read2_b32 v[17:18], v17 offset0:51 offset1:142
	v_fma_f16 v4, v12, v26, -v4
	v_mul_f16_sdwa v12, v13, v27 dst_sel:DWORD dst_unused:UNUSED_PAD src0_sel:WORD_1 src1_sel:DWORD
	s_waitcnt lgkmcnt(1)
	v_lshrrev_b32_e32 v28, 16, v6
	v_fma_f16 v12, v13, v5, v12
	v_mul_f16_sdwa v5, v13, v5 dst_sel:DWORD dst_unused:UNUSED_PAD src0_sel:WORD_1 src1_sel:DWORD
	v_fma_f16 v5, v13, v27, -v5
	v_mul_f16_sdwa v13, v14, v28 dst_sel:DWORD dst_unused:UNUSED_PAD src0_sel:WORD_1 src1_sel:DWORD
	v_lshrrev_b32_e32 v29, 16, v7
	v_fma_f16 v13, v14, v6, v13
	v_mul_f16_sdwa v6, v14, v6 dst_sel:DWORD dst_unused:UNUSED_PAD src0_sel:WORD_1 src1_sel:DWORD
	v_fma_f16 v6, v14, v28, -v6
	v_mul_f16_sdwa v14, v15, v29 dst_sel:DWORD dst_unused:UNUSED_PAD src0_sel:WORD_1 src1_sel:DWORD
	s_waitcnt lgkmcnt(0)
	v_lshrrev_b32_e32 v30, 16, v17
	v_lshrrev_b32_e32 v31, 16, v18
	v_fma_f16 v14, v15, v7, v14
	v_mul_f16_sdwa v7, v15, v7 dst_sel:DWORD dst_unused:UNUSED_PAD src0_sel:WORD_1 src1_sel:DWORD
	v_fma_f16 v7, v15, v29, -v7
	v_mul_f16_sdwa v15, v21, v30 dst_sel:DWORD dst_unused:UNUSED_PAD src0_sel:WORD_1 src1_sel:DWORD
	v_mul_f16_sdwa v20, v22, v31 dst_sel:DWORD dst_unused:UNUSED_PAD src0_sel:WORD_1 src1_sel:DWORD
	v_fma_f16 v15, v21, v17, v15
	v_mul_f16_sdwa v17, v21, v17 dst_sel:DWORD dst_unused:UNUSED_PAD src0_sel:WORD_1 src1_sel:DWORD
	v_fma_f16 v20, v22, v18, v20
	v_mul_f16_sdwa v18, v22, v18 dst_sel:DWORD dst_unused:UNUSED_PAD src0_sel:WORD_1 src1_sel:DWORD
	v_fma_f16 v17, v21, v30, -v17
	v_fma_f16 v18, v22, v31, -v18
	v_add_f16_e32 v21, v32, v19
	v_add_f16_sdwa v22, v0, v19 dst_sel:DWORD dst_unused:UNUSED_PAD src0_sel:DWORD src1_sel:WORD_1
	v_add_f16_e32 v21, v21, v8
	v_add_f16_e32 v22, v22, v1
	;; [unrolled: 1-line block ×17, first 2 shown]
	v_add_f16_sdwa v22, v22, v18 dst_sel:WORD_1 dst_unused:UNUSED_PAD src0_sel:DWORD src1_sel:DWORD
	v_add_f16_e32 v23, v0, v18
	v_sub_f16_e32 v0, v0, v18
	v_or_b32_e32 v21, v22, v21
	v_add_f16_e32 v22, v32, v20
	v_sub_f16_e32 v20, v32, v20
	s_mov_b32 s5, 0xb853
	v_mul_f16_e32 v18, 0xb853, v0
	s_movk_i32 s14, 0x3abb
	v_mul_f16_e32 v25, 0x3abb, v23
	s_movk_i32 s15, 0x3853
	s_mov_b32 s1, 0xbb47
	v_mul_f16_e32 v27, 0xbb47, v0
	s_movk_i32 s2, 0x36a6
	v_mul_f16_e32 v29, 0x36a6, v23
	s_movk_i32 s3, 0x3b47
	s_mov_b32 s0, 0xbbeb
	v_mul_f16_e32 v31, 0xbbeb, v0
	s_mov_b32 s4, 0xb08e
	v_mul_f16_e32 v33, 0xb08e, v23
	s_movk_i32 s16, 0x3beb
	s_mov_b32 s17, 0xba0c
	v_mul_f16_e32 v35, 0xba0c, v0
	s_mov_b32 s18, 0xb93d
	;; [unrolled: 5-line block ×3, first 2 shown]
	v_mul_f16_e32 v23, 0xbbad, v23
	s_movk_i32 s22, 0x3482
	v_fma_f16 v24, v22, s14, v18
	v_fma_f16 v26, v20, s15, v25
	v_fma_f16 v18, v22, s14, -v18
	v_fma_f16 v25, v20, s5, v25
	v_fma_f16 v28, v22, s2, v27
	v_fma_f16 v30, v20, s3, v29
	v_fma_f16 v27, v22, s2, -v27
	v_fma_f16 v29, v20, s1, v29
	;; [unrolled: 4-line block ×5, first 2 shown]
	v_add_f16_e32 v22, v1, v17
	v_sub_f16_e32 v1, v1, v17
	v_add_f16_e32 v24, v24, v19
	v_add_f16_sdwa v26, v26, v19 dst_sel:DWORD dst_unused:UNUSED_PAD src0_sel:DWORD src1_sel:WORD_1
	v_add_f16_e32 v18, v18, v19
	v_add_f16_sdwa v25, v25, v19 dst_sel:DWORD dst_unused:UNUSED_PAD src0_sel:DWORD src1_sel:WORD_1
	;; [unrolled: 2-line block ×10, first 2 shown]
	v_add_f16_e32 v20, v8, v15
	v_sub_f16_e32 v8, v8, v15
	v_mul_f16_e32 v15, 0xbb47, v1
	v_fma_f16 v17, v20, s2, v15
	v_mul_f16_e32 v23, 0x36a6, v22
	v_fma_f16 v15, v20, s2, -v15
	v_add_f16_e32 v17, v17, v24
	v_fma_f16 v24, v8, s3, v23
	v_add_f16_e32 v15, v15, v18
	v_fma_f16 v18, v8, s1, v23
	v_mul_f16_e32 v23, 0xba0c, v1
	v_add_f16_e32 v24, v24, v26
	v_add_f16_e32 v18, v18, v25
	v_fma_f16 v25, v20, s18, v23
	v_mul_f16_e32 v26, 0xb93d, v22
	v_fma_f16 v23, v20, s18, -v23
	v_add_f16_e32 v25, v25, v28
	v_fma_f16 v28, v8, s19, v26
	v_add_f16_e32 v23, v23, v27
	v_fma_f16 v26, v8, s17, v26
	v_mul_f16_e32 v27, 0x3482, v1
	v_add_f16_e32 v28, v28, v30
	v_add_f16_e32 v26, v26, v29
	v_fma_f16 v29, v20, s21, v27
	v_mul_f16_e32 v30, 0xbbad, v22
	v_fma_f16 v27, v20, s21, -v27
	v_add_f16_e32 v29, v29, v32
	v_fma_f16 v32, v8, s20, v30
	v_add_f16_e32 v27, v27, v31
	v_fma_f16 v30, v8, s22, v30
	v_mul_f16_e32 v31, 0x3beb, v1
	v_add_f16_e32 v30, v30, v33
	v_fma_f16 v33, v20, s4, v31
	v_fma_f16 v31, v20, s4, -v31
	v_mul_f16_e32 v1, 0x3853, v1
	v_add_f16_e32 v32, v32, v34
	v_mul_f16_e32 v34, 0xb08e, v22
	v_add_f16_e32 v31, v31, v35
	v_fma_f16 v35, v20, s14, v1
	v_mul_f16_e32 v22, 0x3abb, v22
	v_fma_f16 v1, v20, s14, -v1
	v_add_f16_e32 v0, v1, v0
	v_fma_f16 v1, v8, s15, v22
	v_add_f16_e32 v33, v33, v36
	v_fma_f16 v36, v8, s0, v34
	v_fma_f16 v34, v8, s16, v34
	v_add_f16_e32 v1, v1, v19
	v_add_f16_e32 v19, v2, v7
	v_sub_f16_e32 v2, v2, v7
	v_add_f16_e32 v34, v34, v37
	v_fma_f16 v37, v8, s5, v22
	v_add_f16_e32 v8, v9, v14
	v_mul_f16_e32 v7, 0xbbeb, v2
	v_sub_f16_e32 v9, v9, v14
	v_fma_f16 v14, v8, s4, v7
	v_add_f16_e32 v14, v14, v17
	v_mul_f16_e32 v17, 0xb08e, v19
	v_fma_f16 v7, v8, s4, -v7
	v_fma_f16 v20, v9, s16, v17
	v_add_f16_e32 v7, v7, v15
	v_fma_f16 v15, v9, s0, v17
	v_mul_f16_e32 v17, 0x3482, v2
	v_add_f16_e32 v15, v15, v18
	v_fma_f16 v18, v8, s21, v17
	v_fma_f16 v17, v8, s21, -v17
	v_mul_f16_e32 v22, 0xbbad, v19
	v_add_f16_e32 v17, v17, v23
	v_mul_f16_e32 v23, 0x3b47, v2
	v_add_f16_e32 v20, v20, v24
	v_add_f16_e32 v18, v18, v25
	v_fma_f16 v24, v9, s20, v22
	v_fma_f16 v22, v9, s22, v22
	;; [unrolled: 1-line block ×3, first 2 shown]
	v_fma_f16 v23, v8, s2, -v23
	v_add_f16_e32 v22, v22, v26
	v_mul_f16_e32 v26, 0x36a6, v19
	v_add_f16_e32 v23, v23, v27
	v_mul_f16_e32 v27, 0xb853, v2
	v_add_f16_e32 v24, v24, v28
	v_add_f16_e32 v25, v25, v29
	v_fma_f16 v28, v9, s1, v26
	v_fma_f16 v26, v9, s3, v26
	;; [unrolled: 1-line block ×3, first 2 shown]
	v_fma_f16 v27, v8, s14, -v27
	v_mul_f16_e32 v2, 0xba0c, v2
	v_add_f16_e32 v26, v26, v30
	v_mul_f16_e32 v30, 0x3abb, v19
	v_add_f16_e32 v27, v27, v31
	v_fma_f16 v31, v8, s18, v2
	v_mul_f16_e32 v19, 0xb93d, v19
	v_fma_f16 v2, v8, s18, -v2
	v_add_f16_e32 v0, v2, v0
	v_fma_f16 v2, v9, s17, v19
	v_add_f16_e32 v8, v3, v6
	v_sub_f16_e32 v3, v3, v6
	v_add_f16_e32 v1, v2, v1
	v_add_f16_e32 v2, v10, v13
	v_mul_f16_e32 v6, 0xba0c, v3
	v_add_f16_e32 v28, v28, v32
	v_add_f16_e32 v29, v29, v33
	v_fma_f16 v32, v9, s15, v30
	v_fma_f16 v30, v9, s5, v30
	;; [unrolled: 1-line block ×3, first 2 shown]
	v_sub_f16_e32 v9, v10, v13
	v_fma_f16 v10, v2, s18, v6
	v_mul_f16_e32 v13, 0xb93d, v8
	v_fma_f16 v6, v2, s18, -v6
	v_add_f16_e32 v10, v10, v14
	v_fma_f16 v14, v9, s19, v13
	v_add_f16_e32 v6, v6, v7
	v_fma_f16 v7, v9, s17, v13
	v_mul_f16_e32 v13, 0x3beb, v3
	v_add_f16_e32 v7, v7, v15
	v_fma_f16 v15, v2, s4, v13
	v_add_f16_e32 v15, v15, v18
	v_mul_f16_e32 v18, 0xb08e, v8
	v_fma_f16 v13, v2, s4, -v13
	v_fma_f16 v19, v9, s0, v18
	v_add_f16_e32 v13, v13, v17
	v_fma_f16 v17, v9, s16, v18
	v_mul_f16_e32 v18, 0xb853, v3
	v_add_f16_e32 v14, v14, v20
	v_fma_f16 v20, v2, s14, v18
	v_fma_f16 v18, v2, s14, -v18
	v_add_f16_e32 v17, v17, v22
	v_mul_f16_e32 v22, 0x3abb, v8
	v_add_f16_e32 v18, v18, v23
	v_mul_f16_e32 v23, 0xb482, v3
	v_add_f16_e32 v19, v19, v24
	v_add_f16_e32 v20, v20, v25
	v_fma_f16 v24, v9, s15, v22
	v_fma_f16 v22, v9, s5, v22
	;; [unrolled: 1-line block ×3, first 2 shown]
	v_fma_f16 v23, v2, s21, -v23
	v_mul_f16_e32 v3, 0x3b47, v3
	v_add_f16_e32 v22, v22, v26
	v_mul_f16_e32 v26, 0xbbad, v8
	v_add_f16_e32 v23, v23, v27
	v_fma_f16 v27, v2, s2, v3
	v_mul_f16_e32 v8, 0x36a6, v8
	v_fma_f16 v2, v2, s2, -v3
	v_add_f16_e32 v0, v2, v0
	v_fma_f16 v2, v9, s3, v8
	v_add_f16_e32 v3, v4, v5
	v_sub_f16_e32 v4, v4, v5
	v_add_f16_e32 v1, v2, v1
	v_add_f16_e32 v2, v11, v12
	v_mul_f16_e32 v5, 0xb482, v4
	v_add_f16_e32 v24, v24, v28
	v_add_f16_e32 v25, v25, v29
	v_fma_f16 v28, v9, s22, v26
	v_fma_f16 v26, v9, s20, v26
	;; [unrolled: 1-line block ×4, first 2 shown]
	v_sub_f16_e32 v8, v11, v12
	v_add_f16_e32 v9, v9, v10
	v_mul_f16_e32 v10, 0xbbad, v3
	v_fma_f16 v5, v2, s21, -v5
	v_add_f16_e32 v5, v5, v6
	v_fma_f16 v6, v8, s20, v10
	v_add_f16_e32 v6, v6, v7
	v_mul_f16_e32 v7, 0x3853, v4
	v_fma_f16 v11, v8, s22, v10
	v_fma_f16 v10, v2, s14, v7
	v_fma_f16 v7, v2, s14, -v7
	v_mul_f16_e32 v12, 0x3abb, v3
	v_add_f16_e32 v7, v7, v13
	v_mul_f16_e32 v13, 0xba0c, v4
	v_add_f16_e32 v11, v11, v14
	v_add_f16_e32 v10, v10, v15
	v_fma_f16 v14, v8, s5, v12
	v_fma_f16 v12, v8, s15, v12
	;; [unrolled: 1-line block ×3, first 2 shown]
	v_fma_f16 v13, v2, s18, -v13
	v_add_f16_e32 v12, v12, v17
	v_mul_f16_e32 v17, 0xb93d, v3
	v_add_f16_e32 v13, v13, v18
	v_mul_f16_e32 v18, 0x3b47, v4
	v_add_f16_e32 v36, v36, v38
	v_add_f16_e32 v14, v14, v19
	;; [unrolled: 1-line block ×3, first 2 shown]
	v_fma_f16 v19, v8, s19, v17
	v_fma_f16 v17, v8, s17, v17
	;; [unrolled: 1-line block ×3, first 2 shown]
	v_fma_f16 v18, v2, s2, -v18
	v_mul_f16_e32 v4, 0xbbeb, v4
	v_add_f16_e32 v35, v35, v39
	v_add_f16_e32 v37, v37, v40
	v_add_f16_e32 v32, v32, v36
	v_add_f16_e32 v17, v17, v22
	v_mul_f16_e32 v22, 0x36a6, v3
	v_add_f16_e32 v18, v18, v23
	v_fma_f16 v23, v2, s4, v4
	v_mul_f16_e32 v3, 0xb08e, v3
	v_fma_f16 v2, v2, s4, -v4
	v_add_f16_e32 v31, v31, v35
	v_add_f16_e32 v33, v33, v37
	;; [unrolled: 1-line block ×4, first 2 shown]
	v_fma_f16 v24, v8, s1, v22
	v_add_f16_e32 v0, v2, v0
	v_fma_f16 v2, v8, s0, v3
	v_add_f16_e32 v30, v30, v34
	v_add_f16_e32 v27, v27, v31
	v_add_f16_e32 v29, v29, v33
	v_add_f16_e32 v20, v20, v25
	v_add_f16_e32 v24, v24, v28
	v_fma_f16 v25, v8, s16, v3
	v_add_f16_e32 v1, v2, v1
	v_pack_b32_f16 v2, v9, v11
	v_pack_b32_f16 v3, v10, v14
	v_add_f16_e32 v26, v26, v30
	v_fma_f16 v22, v8, s3, v22
	v_add_f16_e32 v23, v23, v27
	v_add_f16_e32 v25, v25, v29
	ds_write_b32 v44, v21
	ds_write2_b32 v44, v2, v3 offset0:91 offset1:182
	v_pack_b32_f16 v2, v15, v19
	v_pack_b32_f16 v3, v20, v24
	v_add_u32_e32 v9, 0x400, v44
	v_add_f16_e32 v22, v22, v26
	ds_write2_b32 v9, v2, v3 offset0:17 offset1:108
	v_pack_b32_f16 v2, v23, v25
	v_pack_b32_f16 v0, v0, v1
	v_add_u32_e32 v1, 0x600, v44
	ds_write2_b32 v1, v2, v0 offset0:71 offset1:162
	v_pack_b32_f16 v0, v18, v22
	v_pack_b32_f16 v1, v13, v17
	v_add_u32_e32 v8, 0x800, v44
	;; [unrolled: 4-line block ×3, first 2 shown]
	ds_write2_b32 v7, v0, v1 offset0:51 offset1:142
	s_waitcnt lgkmcnt(0)
	s_barrier
	s_and_b64 exec, exec, vcc
	s_cbranch_execz .LBB0_23
; %bb.22:
	global_load_dword v12, v41, s[6:7]
	global_load_dword v11, v41, s[6:7] offset:308
	ds_read_b32 v19, v44
	v_mad_u64_u32 v[2:3], s[0:1], s10, v16, 0
	v_mad_u64_u32 v[4:5], s[0:1], s8, v42, 0
	v_mov_b32_e32 v6, 0x7c00
	ds_read2_b32 v[0:1], v44 offset0:77 offset1:154
	v_mad_u64_u32 v[20:21], s[0:1], s11, v16, v[3:4]
	s_waitcnt lgkmcnt(1)
	v_lshrrev_b32_e32 v3, 16, v19
	v_mad_u64_u32 v[23:24], s[0:1], s9, v42, v[5:6]
	s_mov_b32 s14, 0x27a3ee9c
	s_mov_b32 s15, 0x3f505e1d
	global_load_dword v13, v41, s[6:7] offset:616
	global_load_dword v14, v41, s[6:7] offset:924
	;; [unrolled: 1-line block ×6, first 2 shown]
	s_movk_i32 s18, 0x1ff
	s_movk_i32 s17, 0xffe
	v_mov_b32_e32 v5, v23
	s_movk_i32 s16, 0x40f
	s_mov_b32 s10, 0x8000
	s_waitcnt vmcnt(7)
	v_mul_f16_sdwa v16, v3, v12 dst_sel:DWORD dst_unused:UNUSED_PAD src0_sel:DWORD src1_sel:WORD_1
	v_fma_f16 v16, v19, v12, v16
	v_mul_f16_sdwa v19, v19, v12 dst_sel:DWORD dst_unused:UNUSED_PAD src0_sel:DWORD src1_sel:WORD_1
	v_cvt_f32_f16_e32 v16, v16
	v_fma_f16 v3, v12, v3, -v19
	v_cvt_f32_f16_e32 v3, v3
	s_waitcnt lgkmcnt(0)
	v_lshrrev_b32_e32 v12, 16, v0
	v_cvt_f64_f32_e32 v[21:22], v16
	v_cvt_f64_f32_e32 v[24:25], v3
	s_waitcnt vmcnt(6)
	v_mul_f16_sdwa v3, v12, v11 dst_sel:DWORD dst_unused:UNUSED_PAD src0_sel:DWORD src1_sel:WORD_1
	v_mul_f64 v[21:22], v[21:22], s[14:15]
	v_fma_f16 v3, v0, v11, v3
	v_mul_f64 v[24:25], v[24:25], s[14:15]
	v_cvt_f32_f16_e32 v16, v3
	v_mov_b32_e32 v3, v20
	v_lshlrev_b64 v[2:3], 2, v[2:3]
	v_mul_f16_sdwa v0, v0, v11 dst_sel:DWORD dst_unused:UNUSED_PAD src0_sel:DWORD src1_sel:WORD_1
	v_cvt_f64_f32_e32 v[19:20], v16
	v_and_or_b32 v16, v22, s18, v21
	v_cmp_ne_u32_e32 vcc, 0, v16
	v_and_or_b32 v24, v25, s18, v24
	v_lshrrev_b32_e32 v21, 8, v22
	v_bfe_u32 v23, v22, 20, 11
	v_cndmask_b32_e64 v16, 0, 1, vcc
	v_cmp_ne_u32_e32 vcc, 0, v24
	v_lshrrev_b32_e32 v26, 8, v25
	v_bfe_u32 v27, v25, 20, 11
	v_sub_u32_e32 v28, 0x3f1, v23
	v_cndmask_b32_e64 v24, 0, 1, vcc
	v_and_or_b32 v16, v21, s17, v16
	v_sub_u32_e32 v29, 0x3f1, v27
	v_med3_i32 v21, v28, 0, 13
	v_and_or_b32 v24, v26, s17, v24
	v_or_b32_e32 v28, 0x1000, v16
	v_add_u32_e32 v23, 0xfffffc10, v23
	v_med3_i32 v26, v29, 0, 13
	v_cmp_ne_u32_e32 vcc, 0, v16
	v_or_b32_e32 v30, 0x1000, v24
	v_lshrrev_b32_e32 v32, v21, v28
	v_add_u32_e32 v27, 0xfffffc10, v27
	v_lshl_or_b32 v29, v23, 12, v16
	v_cndmask_b32_e64 v16, 0, 1, vcc
	v_cmp_ne_u32_e32 vcc, 0, v24
	v_lshrrev_b32_e32 v33, v26, v30
	v_lshlrev_b32_e32 v21, v21, v32
	v_lshl_or_b32 v31, v27, 12, v24
	v_cndmask_b32_e64 v24, 0, 1, vcc
	v_lshlrev_b32_e32 v26, v26, v33
	v_cmp_ne_u32_e32 vcc, v21, v28
	v_cndmask_b32_e64 v21, 0, 1, vcc
	v_cmp_ne_u32_e32 vcc, v26, v30
	v_cndmask_b32_e64 v26, 0, 1, vcc
	v_or_b32_e32 v21, v32, v21
	v_cmp_gt_i32_e32 vcc, 1, v23
	v_cndmask_b32_e32 v21, v29, v21, vcc
	v_or_b32_e32 v26, v33, v26
	v_cmp_gt_i32_e32 vcc, 1, v27
	v_and_b32_e32 v28, 7, v21
	v_cndmask_b32_e32 v26, v31, v26, vcc
	v_cmp_lt_i32_e32 vcc, 5, v28
	v_cmp_eq_u32_e64 s[0:1], 3, v28
	v_lshrrev_b32_e32 v21, 2, v21
	v_and_b32_e32 v29, 7, v26
	s_or_b64 vcc, s[0:1], vcc
	v_cmp_lt_i32_e64 s[2:3], 5, v29
	v_cmp_eq_u32_e64 s[4:5], 3, v29
	v_addc_co_u32_e32 v21, vcc, 0, v21, vcc
	v_lshrrev_b32_e32 v26, 2, v26
	s_or_b64 vcc, s[4:5], s[2:3]
	v_addc_co_u32_e32 v26, vcc, 0, v26, vcc
	v_cmp_gt_i32_e32 vcc, 31, v23
	v_cndmask_b32_e32 v21, v6, v21, vcc
	v_cmp_gt_i32_e32 vcc, 31, v27
	v_lshl_or_b32 v16, v16, 9, v6
	v_cndmask_b32_e32 v26, v6, v26, vcc
	v_cmp_eq_u32_e32 vcc, s16, v23
	v_mul_f64 v[19:20], v[19:20], s[14:15]
	v_lshrrev_b32_e32 v22, 16, v22
	v_lshl_or_b32 v24, v24, 9, v6
	v_cndmask_b32_e32 v16, v21, v16, vcc
	v_cmp_eq_u32_e32 vcc, s16, v27
	v_lshrrev_b32_e32 v25, 16, v25
	v_cndmask_b32_e32 v21, v26, v24, vcc
	v_and_or_b32 v16, v22, s10, v16
	v_and_or_b32 v21, v25, s10, v21
	v_and_b32_e32 v16, 0xffff, v16
	v_lshl_or_b32 v16, v21, 16, v16
	v_mov_b32_e32 v21, s13
	v_add_co_u32_e32 v22, vcc, s12, v2
	v_addc_co_u32_e32 v21, vcc, v21, v3, vcc
	v_lshlrev_b64 v[2:3], 2, v[4:5]
	v_and_or_b32 v4, v20, s18, v19
	v_add_co_u32_e32 v2, vcc, v22, v2
	v_addc_co_u32_e32 v3, vcc, v21, v3, vcc
	v_cmp_ne_u32_e32 vcc, 0, v4
	v_cndmask_b32_e64 v4, 0, 1, vcc
	v_lshrrev_b32_e32 v5, 8, v20
	global_store_dword v[2:3], v16, off
	v_and_or_b32 v16, v5, s17, v4
	v_bfe_u32 v5, v20, 20, 11
	v_sub_u32_e32 v19, 0x3f1, v5
	v_or_b32_e32 v4, 0x1000, v16
	v_med3_i32 v19, v19, 0, 13
	v_lshrrev_b32_e32 v21, v19, v4
	v_lshlrev_b32_e32 v19, v19, v21
	v_cmp_ne_u32_e32 vcc, v19, v4
	v_fma_f16 v0, v11, v12, -v0
	v_cndmask_b32_e64 v4, 0, 1, vcc
	v_add_u32_e32 v19, 0xfffffc10, v5
	v_cvt_f32_f16_e32 v0, v0
	v_or_b32_e32 v4, v21, v4
	v_lshl_or_b32 v5, v19, 12, v16
	v_cmp_gt_i32_e32 vcc, 1, v19
	v_cndmask_b32_e32 v4, v5, v4, vcc
	v_and_b32_e32 v5, 7, v4
	v_cmp_lt_i32_e32 vcc, 5, v5
	v_cmp_eq_u32_e64 s[0:1], 3, v5
	v_lshrrev_b32_e32 v11, 2, v4
	v_cvt_f64_f32_e32 v[4:5], v0
	s_or_b64 vcc, s[0:1], vcc
	v_addc_co_u32_e32 v0, vcc, 0, v11, vcc
	v_mul_f64 v[4:5], v[4:5], s[14:15]
	v_cmp_gt_i32_e32 vcc, 31, v19
	v_cndmask_b32_e32 v0, v6, v0, vcc
	v_cmp_ne_u32_e32 vcc, 0, v16
	v_cndmask_b32_e64 v11, 0, 1, vcc
	v_lshl_or_b32 v11, v11, 9, v6
	v_cmp_eq_u32_e32 vcc, s16, v19
	v_cndmask_b32_e32 v0, v0, v11, vcc
	v_and_or_b32 v4, v5, s18, v4
	v_lshrrev_b32_e32 v11, 16, v20
	v_cmp_ne_u32_e32 vcc, 0, v4
	v_and_or_b32 v0, v11, s10, v0
	v_cndmask_b32_e64 v4, 0, 1, vcc
	v_lshrrev_b32_e32 v11, 8, v5
	v_bfe_u32 v12, v5, 20, 11
	v_and_or_b32 v4, v11, s17, v4
	v_sub_u32_e32 v16, 0x3f1, v12
	v_or_b32_e32 v11, 0x1000, v4
	v_med3_i32 v16, v16, 0, 13
	v_lshrrev_b32_e32 v19, v16, v11
	v_lshlrev_b32_e32 v16, v16, v19
	v_cmp_ne_u32_e32 vcc, v16, v11
	v_cndmask_b32_e64 v11, 0, 1, vcc
	v_add_u32_e32 v12, 0xfffffc10, v12
	v_or_b32_e32 v11, v19, v11
	v_lshl_or_b32 v16, v12, 12, v4
	v_cmp_gt_i32_e32 vcc, 1, v12
	v_cndmask_b32_e32 v11, v16, v11, vcc
	v_and_b32_e32 v16, 7, v11
	v_cmp_lt_i32_e32 vcc, 5, v16
	v_cmp_eq_u32_e64 s[0:1], 3, v16
	v_lshrrev_b32_e32 v11, 2, v11
	s_or_b64 vcc, s[0:1], vcc
	v_addc_co_u32_e32 v11, vcc, 0, v11, vcc
	v_cmp_gt_i32_e32 vcc, 31, v12
	v_cndmask_b32_e32 v11, v6, v11, vcc
	v_cmp_ne_u32_e32 vcc, 0, v4
	v_cndmask_b32_e64 v4, 0, 1, vcc
	v_lshl_or_b32 v4, v4, 9, v6
	v_cmp_eq_u32_e32 vcc, s16, v12
	v_cndmask_b32_e32 v4, v11, v4, vcc
	v_lshrrev_b32_e32 v11, 16, v1
	s_waitcnt vmcnt(6)
	v_mul_f16_sdwa v12, v11, v13 dst_sel:DWORD dst_unused:UNUSED_PAD src0_sel:DWORD src1_sel:WORD_1
	v_fma_f16 v12, v1, v13, v12
	v_cvt_f32_f16_e32 v12, v12
	v_lshrrev_b32_e32 v5, 16, v5
	v_and_or_b32 v4, v5, s10, v4
	v_and_b32_e32 v0, 0xffff, v0
	v_lshl_or_b32 v0, v4, 16, v0
	v_cvt_f64_f32_e32 v[4:5], v12
	s_mul_i32 s0, s9, 0x134
	s_mul_hi_u32 s2, s8, 0x134
	s_add_i32 s2, s2, s0
	v_mul_f64 v[4:5], v[4:5], s[14:15]
	s_mul_i32 s3, s8, 0x134
	v_mov_b32_e32 v12, s2
	v_add_co_u32_e32 v2, vcc, s3, v2
	v_addc_co_u32_e32 v3, vcc, v3, v12, vcc
	global_store_dword v[2:3], v0, off
	v_and_or_b32 v0, v5, s18, v4
	v_cmp_ne_u32_e32 vcc, 0, v0
	v_cndmask_b32_e64 v0, 0, 1, vcc
	v_lshrrev_b32_e32 v4, 8, v5
	v_bfe_u32 v12, v5, 20, 11
	v_and_or_b32 v4, v4, s17, v0
	v_sub_u32_e32 v16, 0x3f1, v12
	v_or_b32_e32 v0, 0x1000, v4
	v_med3_i32 v16, v16, 0, 13
	v_lshrrev_b32_e32 v19, v16, v0
	v_mul_f16_sdwa v1, v1, v13 dst_sel:DWORD dst_unused:UNUSED_PAD src0_sel:DWORD src1_sel:WORD_1
	v_lshlrev_b32_e32 v16, v16, v19
	v_fma_f16 v1, v13, v11, -v1
	v_cmp_ne_u32_e32 vcc, v16, v0
	v_cvt_f32_f16_e32 v1, v1
	v_cndmask_b32_e64 v0, 0, 1, vcc
	v_add_u32_e32 v12, 0xfffffc10, v12
	v_or_b32_e32 v0, v19, v0
	v_lshl_or_b32 v16, v12, 12, v4
	v_cmp_gt_i32_e32 vcc, 1, v12
	v_cndmask_b32_e32 v0, v16, v0, vcc
	v_and_b32_e32 v16, 7, v0
	v_lshrrev_b32_e32 v11, 2, v0
	v_cvt_f64_f32_e32 v[0:1], v1
	v_cmp_lt_i32_e32 vcc, 5, v16
	v_cmp_eq_u32_e64 s[0:1], 3, v16
	s_or_b64 vcc, s[0:1], vcc
	v_mul_f64 v[0:1], v[0:1], s[14:15]
	v_addc_co_u32_e32 v11, vcc, 0, v11, vcc
	v_cmp_gt_i32_e32 vcc, 31, v12
	v_cndmask_b32_e32 v11, v6, v11, vcc
	v_cmp_ne_u32_e32 vcc, 0, v4
	v_cndmask_b32_e64 v4, 0, 1, vcc
	v_lshl_or_b32 v4, v4, 9, v6
	v_cmp_eq_u32_e32 vcc, s16, v12
	v_and_or_b32 v0, v1, s18, v0
	v_cndmask_b32_e32 v4, v11, v4, vcc
	v_lshrrev_b32_e32 v5, 16, v5
	v_cmp_ne_u32_e32 vcc, 0, v0
	v_and_or_b32 v13, v5, s10, v4
	v_cndmask_b32_e64 v0, 0, 1, vcc
	v_lshrrev_b32_e32 v4, 8, v1
	v_bfe_u32 v5, v1, 20, 11
	v_and_or_b32 v0, v4, s17, v0
	v_sub_u32_e32 v11, 0x3f1, v5
	v_or_b32_e32 v4, 0x1000, v0
	v_med3_i32 v11, v11, 0, 13
	v_lshrrev_b32_e32 v12, v11, v4
	v_lshlrev_b32_e32 v11, v11, v12
	v_cmp_ne_u32_e32 vcc, v11, v4
	v_cndmask_b32_e64 v4, 0, 1, vcc
	v_add_u32_e32 v11, 0xfffffc10, v5
	v_or_b32_e32 v4, v12, v4
	v_lshl_or_b32 v5, v11, 12, v0
	v_cmp_gt_i32_e32 vcc, 1, v11
	v_cndmask_b32_e32 v4, v5, v4, vcc
	v_and_b32_e32 v5, 7, v4
	v_cmp_lt_i32_e32 vcc, 5, v5
	v_cmp_eq_u32_e64 s[0:1], 3, v5
	v_lshrrev_b32_e32 v4, 2, v4
	s_or_b64 vcc, s[0:1], vcc
	v_addc_co_u32_e32 v12, vcc, 0, v4, vcc
	v_add_u32_e32 v4, 0x200, v44
	ds_read2_b32 v[4:5], v4 offset0:103 offset1:180
	v_cmp_gt_i32_e32 vcc, 31, v11
	v_cndmask_b32_e32 v12, v6, v12, vcc
	v_cmp_ne_u32_e32 vcc, 0, v0
	v_cndmask_b32_e64 v0, 0, 1, vcc
	s_waitcnt lgkmcnt(0)
	v_lshrrev_b32_e32 v16, 16, v4
	s_waitcnt vmcnt(6)
	v_mul_f16_sdwa v19, v16, v14 dst_sel:DWORD dst_unused:UNUSED_PAD src0_sel:DWORD src1_sel:WORD_1
	v_fma_f16 v19, v4, v14, v19
	v_cvt_f32_f16_e32 v19, v19
	v_lshl_or_b32 v0, v0, 9, v6
	v_cmp_eq_u32_e32 vcc, s16, v11
	v_cndmask_b32_e32 v0, v12, v0, vcc
	v_cvt_f64_f32_e32 v[11:12], v19
	v_lshrrev_b32_e32 v1, 16, v1
	v_and_or_b32 v19, v1, s10, v0
	v_add_co_u32_e32 v2, vcc, s3, v2
	v_mul_f64 v[0:1], v[11:12], s[14:15]
	v_mov_b32_e32 v12, s2
	v_and_b32_e32 v13, 0xffff, v13
	v_addc_co_u32_e32 v3, vcc, v3, v12, vcc
	v_lshl_or_b32 v11, v19, 16, v13
	global_store_dword v[2:3], v11, off
	v_mul_f16_sdwa v4, v4, v14 dst_sel:DWORD dst_unused:UNUSED_PAD src0_sel:DWORD src1_sel:WORD_1
	v_and_or_b32 v0, v1, s18, v0
	v_cmp_ne_u32_e32 vcc, 0, v0
	v_cndmask_b32_e64 v0, 0, 1, vcc
	v_lshrrev_b32_e32 v11, 8, v1
	v_bfe_u32 v12, v1, 20, 11
	v_and_or_b32 v0, v11, s17, v0
	v_sub_u32_e32 v13, 0x3f1, v12
	v_or_b32_e32 v11, 0x1000, v0
	v_med3_i32 v13, v13, 0, 13
	v_lshrrev_b32_e32 v19, v13, v11
	v_lshlrev_b32_e32 v13, v13, v19
	v_cmp_ne_u32_e32 vcc, v13, v11
	v_fma_f16 v4, v14, v16, -v4
	v_cndmask_b32_e64 v11, 0, 1, vcc
	v_add_u32_e32 v13, 0xfffffc10, v12
	v_cvt_f32_f16_e32 v4, v4
	v_or_b32_e32 v11, v19, v11
	v_lshl_or_b32 v12, v13, 12, v0
	v_cmp_gt_i32_e32 vcc, 1, v13
	v_cndmask_b32_e32 v11, v12, v11, vcc
	v_and_b32_e32 v12, 7, v11
	v_cmp_lt_i32_e32 vcc, 5, v12
	v_cmp_eq_u32_e64 s[0:1], 3, v12
	v_lshrrev_b32_e32 v14, 2, v11
	v_cvt_f64_f32_e32 v[11:12], v4
	s_or_b64 vcc, s[0:1], vcc
	v_addc_co_u32_e32 v4, vcc, 0, v14, vcc
	v_mul_f64 v[11:12], v[11:12], s[14:15]
	v_cmp_gt_i32_e32 vcc, 31, v13
	v_cndmask_b32_e32 v4, v6, v4, vcc
	v_cmp_ne_u32_e32 vcc, 0, v0
	v_cndmask_b32_e64 v0, 0, 1, vcc
	v_lshl_or_b32 v0, v0, 9, v6
	v_cmp_eq_u32_e32 vcc, s16, v13
	v_cndmask_b32_e32 v0, v4, v0, vcc
	v_lshrrev_b32_e32 v1, 16, v1
	v_and_or_b32 v4, v1, s10, v0
	v_and_or_b32 v0, v12, s18, v11
	v_cmp_ne_u32_e32 vcc, 0, v0
	v_cndmask_b32_e64 v0, 0, 1, vcc
	v_lshrrev_b32_e32 v1, 8, v12
	v_bfe_u32 v11, v12, 20, 11
	v_and_or_b32 v0, v1, s17, v0
	v_sub_u32_e32 v13, 0x3f1, v11
	v_or_b32_e32 v1, 0x1000, v0
	v_med3_i32 v13, v13, 0, 13
	v_lshrrev_b32_e32 v14, v13, v1
	v_lshlrev_b32_e32 v13, v13, v14
	v_cmp_ne_u32_e32 vcc, v13, v1
	v_cndmask_b32_e64 v1, 0, 1, vcc
	v_add_u32_e32 v11, 0xfffffc10, v11
	v_or_b32_e32 v1, v14, v1
	v_lshl_or_b32 v13, v11, 12, v0
	v_cmp_gt_i32_e32 vcc, 1, v11
	v_cndmask_b32_e32 v1, v13, v1, vcc
	v_and_b32_e32 v13, 7, v1
	v_cmp_lt_i32_e32 vcc, 5, v13
	v_cmp_eq_u32_e64 s[0:1], 3, v13
	v_lshrrev_b32_e32 v13, 16, v5
	v_lshrrev_b32_e32 v1, 2, v1
	s_or_b64 vcc, s[0:1], vcc
	s_waitcnt vmcnt(6)
	v_mul_f16_sdwa v14, v13, v15 dst_sel:DWORD dst_unused:UNUSED_PAD src0_sel:DWORD src1_sel:WORD_1
	v_addc_co_u32_e32 v1, vcc, 0, v1, vcc
	v_fma_f16 v14, v5, v15, v14
	v_cmp_gt_i32_e32 vcc, 31, v11
	v_cvt_f32_f16_e32 v14, v14
	v_cndmask_b32_e32 v1, v6, v1, vcc
	v_cmp_ne_u32_e32 vcc, 0, v0
	v_cndmask_b32_e64 v0, 0, 1, vcc
	v_lshl_or_b32 v0, v0, 9, v6
	v_cmp_eq_u32_e32 vcc, s16, v11
	v_cndmask_b32_e32 v11, v1, v0, vcc
	v_cvt_f64_f32_e32 v[0:1], v14
	v_lshrrev_b32_e32 v12, 16, v12
	v_and_or_b32 v11, v12, s10, v11
	v_and_b32_e32 v4, 0xffff, v4
	v_mul_f64 v[0:1], v[0:1], s[14:15]
	v_lshl_or_b32 v4, v11, 16, v4
	v_mov_b32_e32 v11, s2
	v_add_co_u32_e32 v2, vcc, s3, v2
	v_addc_co_u32_e32 v3, vcc, v3, v11, vcc
	global_store_dword v[2:3], v4, off
	v_and_or_b32 v0, v1, s18, v0
	v_cmp_ne_u32_e32 vcc, 0, v0
	v_cndmask_b32_e64 v0, 0, 1, vcc
	v_lshrrev_b32_e32 v4, 8, v1
	v_bfe_u32 v11, v1, 20, 11
	v_and_or_b32 v0, v4, s17, v0
	v_sub_u32_e32 v12, 0x3f1, v11
	v_or_b32_e32 v4, 0x1000, v0
	v_med3_i32 v12, v12, 0, 13
	v_lshrrev_b32_e32 v14, v12, v4
	v_lshlrev_b32_e32 v12, v12, v14
	v_mul_f16_sdwa v5, v5, v15 dst_sel:DWORD dst_unused:UNUSED_PAD src0_sel:DWORD src1_sel:WORD_1
	v_cmp_ne_u32_e32 vcc, v12, v4
	v_fma_f16 v5, v15, v13, -v5
	v_cndmask_b32_e64 v4, 0, 1, vcc
	v_add_u32_e32 v11, 0xfffffc10, v11
	v_cvt_f32_f16_e32 v5, v5
	v_or_b32_e32 v4, v14, v4
	v_lshl_or_b32 v12, v11, 12, v0
	v_cmp_gt_i32_e32 vcc, 1, v11
	v_cndmask_b32_e32 v4, v12, v4, vcc
	v_and_b32_e32 v12, 7, v4
	v_cmp_lt_i32_e32 vcc, 5, v12
	v_cmp_eq_u32_e64 s[0:1], 3, v12
	v_lshrrev_b32_e32 v12, 2, v4
	v_cvt_f64_f32_e32 v[4:5], v5
	s_or_b64 vcc, s[0:1], vcc
	v_addc_co_u32_e32 v12, vcc, 0, v12, vcc
	v_mul_f64 v[4:5], v[4:5], s[14:15]
	v_cmp_gt_i32_e32 vcc, 31, v11
	v_cndmask_b32_e32 v12, v6, v12, vcc
	v_cmp_ne_u32_e32 vcc, 0, v0
	v_cndmask_b32_e64 v0, 0, 1, vcc
	v_lshl_or_b32 v0, v0, 9, v6
	v_cmp_eq_u32_e32 vcc, s16, v11
	v_cndmask_b32_e32 v0, v12, v0, vcc
	v_lshrrev_b32_e32 v1, 16, v1
	v_and_or_b32 v13, v1, s10, v0
	v_and_or_b32 v0, v5, s18, v4
	v_cmp_ne_u32_e32 vcc, 0, v0
	v_cndmask_b32_e64 v0, 0, 1, vcc
	v_lshrrev_b32_e32 v1, 8, v5
	v_and_or_b32 v4, v1, s17, v0
	v_bfe_u32 v1, v5, 20, 11
	v_sub_u32_e32 v11, 0x3f1, v1
	v_or_b32_e32 v0, 0x1000, v4
	v_med3_i32 v11, v11, 0, 13
	v_lshrrev_b32_e32 v12, v11, v0
	v_lshlrev_b32_e32 v11, v11, v12
	v_cmp_ne_u32_e32 vcc, v11, v0
	v_cndmask_b32_e64 v0, 0, 1, vcc
	v_add_u32_e32 v11, 0xfffffc10, v1
	v_or_b32_e32 v0, v12, v0
	v_lshl_or_b32 v1, v11, 12, v4
	v_cmp_gt_i32_e32 vcc, 1, v11
	v_cndmask_b32_e32 v0, v1, v0, vcc
	v_and_b32_e32 v1, 7, v0
	v_cmp_lt_i32_e32 vcc, 5, v1
	v_cmp_eq_u32_e64 s[0:1], 3, v1
	v_lshrrev_b32_e32 v0, 2, v0
	s_or_b64 vcc, s[0:1], vcc
	v_addc_co_u32_e32 v12, vcc, 0, v0, vcc
	ds_read2_b32 v[0:1], v9 offset0:129 offset1:206
	v_cmp_gt_i32_e32 vcc, 31, v11
	v_cndmask_b32_e32 v9, v6, v12, vcc
	v_cmp_ne_u32_e32 vcc, 0, v4
	v_cndmask_b32_e64 v4, 0, 1, vcc
	s_waitcnt lgkmcnt(0)
	v_lshrrev_b32_e32 v14, 16, v0
	s_waitcnt vmcnt(6)
	v_mul_f16_sdwa v12, v14, v17 dst_sel:DWORD dst_unused:UNUSED_PAD src0_sel:DWORD src1_sel:WORD_1
	v_fma_f16 v12, v0, v17, v12
	v_cvt_f32_f16_e32 v12, v12
	v_cmp_eq_u32_e32 vcc, s16, v11
	v_lshl_or_b32 v4, v4, 9, v6
	v_cndmask_b32_e32 v4, v9, v4, vcc
	v_cvt_f64_f32_e32 v[11:12], v12
	v_lshrrev_b32_e32 v5, 16, v5
	v_and_or_b32 v9, v5, s10, v4
	v_add_co_u32_e32 v2, vcc, s3, v2
	v_mul_f64 v[4:5], v[11:12], s[14:15]
	v_mov_b32_e32 v11, s2
	v_and_b32_e32 v13, 0xffff, v13
	v_addc_co_u32_e32 v3, vcc, v3, v11, vcc
	v_lshl_or_b32 v9, v9, 16, v13
	global_store_dword v[2:3], v9, off
	v_mul_f16_sdwa v0, v0, v17 dst_sel:DWORD dst_unused:UNUSED_PAD src0_sel:DWORD src1_sel:WORD_1
	v_and_or_b32 v4, v5, s18, v4
	v_cmp_ne_u32_e32 vcc, 0, v4
	v_cndmask_b32_e64 v4, 0, 1, vcc
	v_lshrrev_b32_e32 v9, 8, v5
	v_bfe_u32 v11, v5, 20, 11
	v_and_or_b32 v4, v9, s17, v4
	v_sub_u32_e32 v12, 0x3f1, v11
	v_or_b32_e32 v9, 0x1000, v4
	v_med3_i32 v12, v12, 0, 13
	v_lshrrev_b32_e32 v13, v12, v9
	v_lshlrev_b32_e32 v12, v12, v13
	v_cmp_ne_u32_e32 vcc, v12, v9
	v_cndmask_b32_e64 v9, 0, 1, vcc
	v_fma_f16 v0, v17, v14, -v0
	v_or_b32_e32 v9, v13, v9
	v_add_u32_e32 v13, 0xfffffc10, v11
	v_cvt_f32_f16_e32 v0, v0
	v_lshl_or_b32 v11, v13, 12, v4
	v_cmp_gt_i32_e32 vcc, 1, v13
	v_cndmask_b32_e32 v9, v11, v9, vcc
	v_and_b32_e32 v11, 7, v9
	v_cmp_lt_i32_e32 vcc, 5, v11
	v_cmp_eq_u32_e64 s[0:1], 3, v11
	v_cvt_f64_f32_e32 v[11:12], v0
	v_lshrrev_b32_e32 v9, 2, v9
	s_or_b64 vcc, s[0:1], vcc
	v_addc_co_u32_e32 v0, vcc, 0, v9, vcc
	v_mul_f64 v[11:12], v[11:12], s[14:15]
	v_cmp_gt_i32_e32 vcc, 31, v13
	v_cndmask_b32_e32 v0, v6, v0, vcc
	v_cmp_ne_u32_e32 vcc, 0, v4
	v_cndmask_b32_e64 v4, 0, 1, vcc
	v_lshl_or_b32 v4, v4, 9, v6
	v_cmp_eq_u32_e32 vcc, s16, v13
	v_cndmask_b32_e32 v0, v0, v4, vcc
	v_lshrrev_b32_e32 v4, 16, v5
	v_and_or_b32 v0, v4, s10, v0
	v_and_or_b32 v4, v12, s18, v11
	v_cmp_ne_u32_e32 vcc, 0, v4
	v_cndmask_b32_e64 v4, 0, 1, vcc
	v_lshrrev_b32_e32 v5, 8, v12
	v_bfe_u32 v9, v12, 20, 11
	v_and_or_b32 v4, v5, s17, v4
	v_sub_u32_e32 v11, 0x3f1, v9
	v_or_b32_e32 v5, 0x1000, v4
	v_med3_i32 v11, v11, 0, 13
	v_lshrrev_b32_e32 v13, v11, v5
	v_lshlrev_b32_e32 v11, v11, v13
	v_cmp_ne_u32_e32 vcc, v11, v5
	v_cndmask_b32_e64 v5, 0, 1, vcc
	v_add_u32_e32 v9, 0xfffffc10, v9
	v_or_b32_e32 v5, v13, v5
	v_lshl_or_b32 v11, v9, 12, v4
	v_cmp_gt_i32_e32 vcc, 1, v9
	v_cndmask_b32_e32 v5, v11, v5, vcc
	v_and_b32_e32 v11, 7, v5
	v_cmp_lt_i32_e32 vcc, 5, v11
	v_cmp_eq_u32_e64 s[0:1], 3, v11
	v_lshrrev_b32_e32 v11, 16, v1
	v_lshrrev_b32_e32 v5, 2, v5
	s_or_b64 vcc, s[0:1], vcc
	s_waitcnt vmcnt(6)
	v_mul_f16_sdwa v13, v11, v18 dst_sel:DWORD dst_unused:UNUSED_PAD src0_sel:DWORD src1_sel:WORD_1
	v_addc_co_u32_e32 v5, vcc, 0, v5, vcc
	v_fma_f16 v13, v1, v18, v13
	v_cmp_gt_i32_e32 vcc, 31, v9
	v_cvt_f32_f16_e32 v13, v13
	v_cndmask_b32_e32 v5, v6, v5, vcc
	v_cmp_ne_u32_e32 vcc, 0, v4
	v_cndmask_b32_e64 v4, 0, 1, vcc
	v_lshl_or_b32 v4, v4, 9, v6
	v_cmp_eq_u32_e32 vcc, s16, v9
	v_cndmask_b32_e32 v9, v5, v4, vcc
	v_cvt_f64_f32_e32 v[4:5], v13
	v_lshrrev_b32_e32 v12, 16, v12
	v_and_or_b32 v9, v12, s10, v9
	v_and_b32_e32 v0, 0xffff, v0
	v_mul_f64 v[4:5], v[4:5], s[14:15]
	v_lshl_or_b32 v0, v9, 16, v0
	v_mov_b32_e32 v9, s2
	v_add_co_u32_e32 v2, vcc, s3, v2
	v_addc_co_u32_e32 v3, vcc, v3, v9, vcc
	global_store_dword v[2:3], v0, off
	v_and_or_b32 v0, v5, s18, v4
	v_cmp_ne_u32_e32 vcc, 0, v0
	v_cndmask_b32_e64 v0, 0, 1, vcc
	v_lshrrev_b32_e32 v4, 8, v5
	v_bfe_u32 v9, v5, 20, 11
	v_and_or_b32 v4, v4, s17, v0
	v_sub_u32_e32 v12, 0x3f1, v9
	v_or_b32_e32 v0, 0x1000, v4
	v_med3_i32 v12, v12, 0, 13
	v_lshrrev_b32_e32 v13, v12, v0
	v_mul_f16_sdwa v1, v1, v18 dst_sel:DWORD dst_unused:UNUSED_PAD src0_sel:DWORD src1_sel:WORD_1
	v_lshlrev_b32_e32 v12, v12, v13
	v_fma_f16 v1, v18, v11, -v1
	v_cmp_ne_u32_e32 vcc, v12, v0
	v_cvt_f32_f16_e32 v1, v1
	v_cndmask_b32_e64 v0, 0, 1, vcc
	v_add_u32_e32 v9, 0xfffffc10, v9
	v_or_b32_e32 v0, v13, v0
	v_lshl_or_b32 v12, v9, 12, v4
	v_cmp_gt_i32_e32 vcc, 1, v9
	v_cndmask_b32_e32 v0, v12, v0, vcc
	v_and_b32_e32 v12, 7, v0
	v_lshrrev_b32_e32 v11, 2, v0
	v_cvt_f64_f32_e32 v[0:1], v1
	v_cmp_lt_i32_e32 vcc, 5, v12
	v_cmp_eq_u32_e64 s[0:1], 3, v12
	s_or_b64 vcc, s[0:1], vcc
	v_mul_f64 v[0:1], v[0:1], s[14:15]
	v_addc_co_u32_e32 v11, vcc, 0, v11, vcc
	v_cmp_gt_i32_e32 vcc, 31, v9
	v_cndmask_b32_e32 v11, v6, v11, vcc
	v_cmp_ne_u32_e32 vcc, 0, v4
	v_cndmask_b32_e64 v4, 0, 1, vcc
	v_lshl_or_b32 v4, v4, 9, v6
	v_cmp_eq_u32_e32 vcc, s16, v9
	v_and_or_b32 v0, v1, s18, v0
	v_cndmask_b32_e32 v4, v11, v4, vcc
	v_lshrrev_b32_e32 v5, 16, v5
	v_cmp_ne_u32_e32 vcc, 0, v0
	v_and_or_b32 v11, v5, s10, v4
	v_cndmask_b32_e64 v0, 0, 1, vcc
	v_lshrrev_b32_e32 v4, 8, v1
	v_bfe_u32 v5, v1, 20, 11
	v_and_or_b32 v0, v4, s17, v0
	v_sub_u32_e32 v9, 0x3f1, v5
	v_or_b32_e32 v4, 0x1000, v0
	v_med3_i32 v9, v9, 0, 13
	v_lshrrev_b32_e32 v12, v9, v4
	global_load_dword v14, v41, s[6:7] offset:2464
	v_lshlrev_b32_e32 v9, v9, v12
	v_cmp_ne_u32_e32 vcc, v9, v4
	v_cndmask_b32_e64 v4, 0, 1, vcc
	v_add_u32_e32 v9, 0xfffffc10, v5
	v_or_b32_e32 v4, v12, v4
	v_lshl_or_b32 v5, v9, 12, v0
	v_cmp_gt_i32_e32 vcc, 1, v9
	v_cndmask_b32_e32 v4, v5, v4, vcc
	v_and_b32_e32 v5, 7, v4
	v_cmp_lt_i32_e32 vcc, 5, v5
	v_cmp_eq_u32_e64 s[0:1], 3, v5
	v_lshrrev_b32_e32 v4, 2, v4
	s_or_b64 vcc, s[0:1], vcc
	v_addc_co_u32_e32 v12, vcc, 0, v4, vcc
	ds_read2_b32 v[4:5], v8 offset0:27 offset1:104
	v_cmp_gt_i32_e32 vcc, 31, v9
	v_cndmask_b32_e32 v8, v6, v12, vcc
	v_cmp_ne_u32_e32 vcc, 0, v0
	v_cndmask_b32_e64 v0, 0, 1, vcc
	s_waitcnt lgkmcnt(0)
	v_lshrrev_b32_e32 v12, 16, v4
	s_waitcnt vmcnt(7)
	v_mul_f16_sdwa v13, v12, v10 dst_sel:DWORD dst_unused:UNUSED_PAD src0_sel:DWORD src1_sel:WORD_1
	v_fma_f16 v13, v4, v10, v13
	v_cvt_f32_f16_e32 v13, v13
	v_lshl_or_b32 v0, v0, 9, v6
	v_cmp_eq_u32_e32 vcc, s16, v9
	v_cndmask_b32_e32 v0, v8, v0, vcc
	v_cvt_f64_f32_e32 v[8:9], v13
	v_lshrrev_b32_e32 v1, 16, v1
	v_and_or_b32 v13, v1, s10, v0
	v_add_co_u32_e32 v2, vcc, s3, v2
	v_mul_f64 v[0:1], v[8:9], s[14:15]
	v_mov_b32_e32 v9, s2
	v_and_b32_e32 v11, 0xffff, v11
	v_addc_co_u32_e32 v3, vcc, v3, v9, vcc
	v_lshl_or_b32 v8, v13, 16, v11
	global_store_dword v[2:3], v8, off
	v_mul_f16_sdwa v4, v4, v10 dst_sel:DWORD dst_unused:UNUSED_PAD src0_sel:DWORD src1_sel:WORD_1
	v_and_or_b32 v0, v1, s18, v0
	v_cmp_ne_u32_e32 vcc, 0, v0
	v_cndmask_b32_e64 v0, 0, 1, vcc
	v_lshrrev_b32_e32 v8, 8, v1
	v_bfe_u32 v9, v1, 20, 11
	v_and_or_b32 v0, v8, s17, v0
	v_sub_u32_e32 v11, 0x3f1, v9
	v_or_b32_e32 v8, 0x1000, v0
	v_med3_i32 v11, v11, 0, 13
	v_lshrrev_b32_e32 v13, v11, v8
	v_lshlrev_b32_e32 v11, v11, v13
	v_cmp_ne_u32_e32 vcc, v11, v8
	v_fma_f16 v4, v10, v12, -v4
	v_cndmask_b32_e64 v8, 0, 1, vcc
	v_add_u32_e32 v11, 0xfffffc10, v9
	v_cvt_f32_f16_e32 v4, v4
	v_or_b32_e32 v8, v13, v8
	v_lshl_or_b32 v9, v11, 12, v0
	v_cmp_gt_i32_e32 vcc, 1, v11
	v_cndmask_b32_e32 v8, v9, v8, vcc
	v_and_b32_e32 v9, 7, v8
	v_cmp_lt_i32_e32 vcc, 5, v9
	v_cmp_eq_u32_e64 s[0:1], 3, v9
	v_lshrrev_b32_e32 v10, 2, v8
	v_cvt_f64_f32_e32 v[8:9], v4
	s_or_b64 vcc, s[0:1], vcc
	v_addc_co_u32_e32 v4, vcc, 0, v10, vcc
	v_mul_f64 v[8:9], v[8:9], s[14:15]
	v_cmp_gt_i32_e32 vcc, 31, v11
	v_cndmask_b32_e32 v4, v6, v4, vcc
	v_cmp_ne_u32_e32 vcc, 0, v0
	v_cndmask_b32_e64 v0, 0, 1, vcc
	v_lshl_or_b32 v0, v0, 9, v6
	v_cmp_eq_u32_e32 vcc, s16, v11
	v_cndmask_b32_e32 v0, v4, v0, vcc
	v_lshrrev_b32_e32 v1, 16, v1
	v_and_or_b32 v4, v1, s10, v0
	v_and_or_b32 v0, v9, s18, v8
	v_cmp_ne_u32_e32 vcc, 0, v0
	v_cndmask_b32_e64 v0, 0, 1, vcc
	v_lshrrev_b32_e32 v1, 8, v9
	v_bfe_u32 v8, v9, 20, 11
	v_and_or_b32 v0, v1, s17, v0
	v_sub_u32_e32 v10, 0x3f1, v8
	v_or_b32_e32 v1, 0x1000, v0
	v_med3_i32 v10, v10, 0, 13
	v_lshrrev_b32_e32 v11, v10, v1
	v_lshlrev_b32_e32 v10, v10, v11
	v_cmp_ne_u32_e32 vcc, v10, v1
	v_cndmask_b32_e64 v1, 0, 1, vcc
	v_or_b32_e32 v1, v11, v1
	global_load_dword v11, v41, s[6:7] offset:2772
	global_load_dword v12, v41, s[6:7] offset:3080
	;; [unrolled: 1-line block ×3, first 2 shown]
	v_add_u32_e32 v8, 0xfffffc10, v8
	v_lshl_or_b32 v10, v8, 12, v0
	v_cmp_gt_i32_e32 vcc, 1, v8
	v_cndmask_b32_e32 v1, v10, v1, vcc
	v_and_b32_e32 v10, 7, v1
	v_cmp_lt_i32_e32 vcc, 5, v10
	v_cmp_eq_u32_e64 s[0:1], 3, v10
	v_lshrrev_b32_e32 v10, 16, v5
	v_lshrrev_b32_e32 v1, 2, v1
	s_or_b64 vcc, s[0:1], vcc
	s_waitcnt vmcnt(4)
	v_mul_f16_sdwa v15, v10, v14 dst_sel:DWORD dst_unused:UNUSED_PAD src0_sel:DWORD src1_sel:WORD_1
	v_addc_co_u32_e32 v1, vcc, 0, v1, vcc
	v_fma_f16 v15, v5, v14, v15
	v_cmp_gt_i32_e32 vcc, 31, v8
	v_cvt_f32_f16_e32 v15, v15
	v_cndmask_b32_e32 v1, v6, v1, vcc
	v_cmp_ne_u32_e32 vcc, 0, v0
	v_cndmask_b32_e64 v0, 0, 1, vcc
	v_lshl_or_b32 v0, v0, 9, v6
	v_cmp_eq_u32_e32 vcc, s16, v8
	v_cndmask_b32_e32 v8, v1, v0, vcc
	v_cvt_f64_f32_e32 v[0:1], v15
	v_lshrrev_b32_e32 v9, 16, v9
	v_and_or_b32 v8, v9, s10, v8
	v_and_b32_e32 v4, 0xffff, v4
	v_mul_f64 v[0:1], v[0:1], s[14:15]
	v_lshl_or_b32 v4, v8, 16, v4
	v_mov_b32_e32 v8, s2
	v_add_co_u32_e32 v2, vcc, s3, v2
	v_addc_co_u32_e32 v3, vcc, v3, v8, vcc
	global_store_dword v[2:3], v4, off
	v_and_or_b32 v0, v1, s18, v0
	v_cmp_ne_u32_e32 vcc, 0, v0
	v_cndmask_b32_e64 v0, 0, 1, vcc
	v_lshrrev_b32_e32 v4, 8, v1
	v_bfe_u32 v8, v1, 20, 11
	v_and_or_b32 v0, v4, s17, v0
	v_sub_u32_e32 v9, 0x3f1, v8
	v_or_b32_e32 v4, 0x1000, v0
	v_med3_i32 v9, v9, 0, 13
	v_lshrrev_b32_e32 v15, v9, v4
	v_lshlrev_b32_e32 v9, v9, v15
	v_mul_f16_sdwa v5, v5, v14 dst_sel:DWORD dst_unused:UNUSED_PAD src0_sel:DWORD src1_sel:WORD_1
	v_cmp_ne_u32_e32 vcc, v9, v4
	v_fma_f16 v5, v14, v10, -v5
	v_cndmask_b32_e64 v4, 0, 1, vcc
	v_add_u32_e32 v8, 0xfffffc10, v8
	v_cvt_f32_f16_e32 v5, v5
	v_or_b32_e32 v4, v15, v4
	v_lshl_or_b32 v9, v8, 12, v0
	v_cmp_gt_i32_e32 vcc, 1, v8
	v_cndmask_b32_e32 v4, v9, v4, vcc
	v_and_b32_e32 v9, 7, v4
	v_cmp_lt_i32_e32 vcc, 5, v9
	v_cmp_eq_u32_e64 s[0:1], 3, v9
	v_lshrrev_b32_e32 v9, 2, v4
	v_cvt_f64_f32_e32 v[4:5], v5
	s_or_b64 vcc, s[0:1], vcc
	v_addc_co_u32_e32 v9, vcc, 0, v9, vcc
	v_mul_f64 v[4:5], v[4:5], s[14:15]
	v_cmp_gt_i32_e32 vcc, 31, v8
	v_cndmask_b32_e32 v9, v6, v9, vcc
	v_cmp_ne_u32_e32 vcc, 0, v0
	v_cndmask_b32_e64 v0, 0, 1, vcc
	v_lshl_or_b32 v0, v0, 9, v6
	v_cmp_eq_u32_e32 vcc, s16, v8
	v_cndmask_b32_e32 v0, v9, v0, vcc
	v_lshrrev_b32_e32 v1, 16, v1
	v_and_or_b32 v10, v1, s10, v0
	v_and_or_b32 v0, v5, s18, v4
	v_cmp_ne_u32_e32 vcc, 0, v0
	v_cndmask_b32_e64 v0, 0, 1, vcc
	v_lshrrev_b32_e32 v1, 8, v5
	v_and_or_b32 v4, v1, s17, v0
	v_bfe_u32 v1, v5, 20, 11
	v_sub_u32_e32 v8, 0x3f1, v1
	v_or_b32_e32 v0, 0x1000, v4
	v_med3_i32 v8, v8, 0, 13
	v_lshrrev_b32_e32 v9, v8, v0
	v_lshlrev_b32_e32 v8, v8, v9
	v_cmp_ne_u32_e32 vcc, v8, v0
	v_cndmask_b32_e64 v0, 0, 1, vcc
	v_add_u32_e32 v8, 0xfffffc10, v1
	v_or_b32_e32 v0, v9, v0
	v_lshl_or_b32 v1, v8, 12, v4
	v_cmp_gt_i32_e32 vcc, 1, v8
	v_cndmask_b32_e32 v0, v1, v0, vcc
	v_and_b32_e32 v1, 7, v0
	v_cmp_lt_i32_e32 vcc, 5, v1
	v_cmp_eq_u32_e64 s[0:1], 3, v1
	v_lshrrev_b32_e32 v0, 2, v0
	s_or_b64 vcc, s[0:1], vcc
	v_addc_co_u32_e32 v9, vcc, 0, v0, vcc
	v_add_u32_e32 v0, 0xa00, v44
	ds_read2_b32 v[0:1], v0 offset0:53 offset1:130
	v_cmp_gt_i32_e32 vcc, 31, v8
	v_cndmask_b32_e32 v9, v6, v9, vcc
	v_cmp_ne_u32_e32 vcc, 0, v4
	v_cndmask_b32_e64 v4, 0, 1, vcc
	s_waitcnt lgkmcnt(0)
	v_lshrrev_b32_e32 v14, 16, v0
	s_waitcnt vmcnt(3)
	v_mul_f16_sdwa v15, v14, v11 dst_sel:DWORD dst_unused:UNUSED_PAD src0_sel:DWORD src1_sel:WORD_1
	v_fma_f16 v15, v0, v11, v15
	v_cvt_f32_f16_e32 v15, v15
	v_lshl_or_b32 v4, v4, 9, v6
	v_cmp_eq_u32_e32 vcc, s16, v8
	v_cndmask_b32_e32 v4, v9, v4, vcc
	v_cvt_f64_f32_e32 v[8:9], v15
	v_lshrrev_b32_e32 v5, 16, v5
	v_and_or_b32 v15, v5, s10, v4
	v_add_co_u32_e32 v2, vcc, s3, v2
	v_mul_f64 v[4:5], v[8:9], s[14:15]
	v_mov_b32_e32 v9, s2
	v_and_b32_e32 v10, 0xffff, v10
	v_addc_co_u32_e32 v3, vcc, v3, v9, vcc
	v_lshl_or_b32 v8, v15, 16, v10
	global_store_dword v[2:3], v8, off
	v_mul_f16_sdwa v0, v0, v11 dst_sel:DWORD dst_unused:UNUSED_PAD src0_sel:DWORD src1_sel:WORD_1
	v_and_or_b32 v4, v5, s18, v4
	v_cmp_ne_u32_e32 vcc, 0, v4
	v_cndmask_b32_e64 v4, 0, 1, vcc
	v_lshrrev_b32_e32 v8, 8, v5
	v_bfe_u32 v9, v5, 20, 11
	v_and_or_b32 v4, v8, s17, v4
	v_sub_u32_e32 v10, 0x3f1, v9
	v_or_b32_e32 v8, 0x1000, v4
	v_med3_i32 v10, v10, 0, 13
	v_lshrrev_b32_e32 v15, v10, v8
	v_lshlrev_b32_e32 v10, v10, v15
	v_cmp_ne_u32_e32 vcc, v10, v8
	v_fma_f16 v0, v11, v14, -v0
	v_cndmask_b32_e64 v8, 0, 1, vcc
	v_add_u32_e32 v10, 0xfffffc10, v9
	v_cvt_f32_f16_e32 v0, v0
	v_or_b32_e32 v8, v15, v8
	v_lshl_or_b32 v9, v10, 12, v4
	v_cmp_gt_i32_e32 vcc, 1, v10
	v_cndmask_b32_e32 v8, v9, v8, vcc
	v_and_b32_e32 v9, 7, v8
	v_cmp_lt_i32_e32 vcc, 5, v9
	v_cmp_eq_u32_e64 s[0:1], 3, v9
	v_lshrrev_b32_e32 v11, 2, v8
	v_cvt_f64_f32_e32 v[8:9], v0
	s_or_b64 vcc, s[0:1], vcc
	v_addc_co_u32_e32 v0, vcc, 0, v11, vcc
	v_mul_f64 v[8:9], v[8:9], s[14:15]
	v_cmp_gt_i32_e32 vcc, 31, v10
	v_cndmask_b32_e32 v0, v6, v0, vcc
	v_cmp_ne_u32_e32 vcc, 0, v4
	v_cndmask_b32_e64 v4, 0, 1, vcc
	v_lshl_or_b32 v4, v4, 9, v6
	v_cmp_eq_u32_e32 vcc, s16, v10
	v_cndmask_b32_e32 v0, v0, v4, vcc
	v_lshrrev_b32_e32 v4, 16, v5
	v_and_or_b32 v0, v4, s10, v0
	v_and_or_b32 v4, v9, s18, v8
	v_cmp_ne_u32_e32 vcc, 0, v4
	v_cndmask_b32_e64 v4, 0, 1, vcc
	v_lshrrev_b32_e32 v5, 8, v9
	v_bfe_u32 v8, v9, 20, 11
	v_and_or_b32 v4, v5, s17, v4
	v_sub_u32_e32 v10, 0x3f1, v8
	v_or_b32_e32 v5, 0x1000, v4
	v_med3_i32 v10, v10, 0, 13
	v_lshrrev_b32_e32 v11, v10, v5
	v_lshlrev_b32_e32 v10, v10, v11
	v_cmp_ne_u32_e32 vcc, v10, v5
	v_cndmask_b32_e64 v5, 0, 1, vcc
	v_add_u32_e32 v8, 0xfffffc10, v8
	v_or_b32_e32 v5, v11, v5
	v_lshl_or_b32 v10, v8, 12, v4
	v_cmp_gt_i32_e32 vcc, 1, v8
	v_cndmask_b32_e32 v5, v10, v5, vcc
	v_and_b32_e32 v10, 7, v5
	v_cmp_lt_i32_e32 vcc, 5, v10
	v_cmp_eq_u32_e64 s[0:1], 3, v10
	v_lshrrev_b32_e32 v10, 16, v1
	v_lshrrev_b32_e32 v5, 2, v5
	s_or_b64 vcc, s[0:1], vcc
	s_waitcnt vmcnt(3)
	v_mul_f16_sdwa v11, v10, v12 dst_sel:DWORD dst_unused:UNUSED_PAD src0_sel:DWORD src1_sel:WORD_1
	v_addc_co_u32_e32 v5, vcc, 0, v5, vcc
	v_fma_f16 v11, v1, v12, v11
	v_cmp_gt_i32_e32 vcc, 31, v8
	v_cvt_f32_f16_e32 v11, v11
	v_cndmask_b32_e32 v5, v6, v5, vcc
	v_cmp_ne_u32_e32 vcc, 0, v4
	v_cndmask_b32_e64 v4, 0, 1, vcc
	v_lshl_or_b32 v4, v4, 9, v6
	v_cmp_eq_u32_e32 vcc, s16, v8
	v_cndmask_b32_e32 v8, v5, v4, vcc
	v_cvt_f64_f32_e32 v[4:5], v11
	v_lshrrev_b32_e32 v9, 16, v9
	v_and_or_b32 v8, v9, s10, v8
	v_and_b32_e32 v0, 0xffff, v0
	v_mul_f64 v[4:5], v[4:5], s[14:15]
	v_lshl_or_b32 v0, v8, 16, v0
	v_mov_b32_e32 v8, s2
	v_add_co_u32_e32 v2, vcc, s3, v2
	v_addc_co_u32_e32 v3, vcc, v3, v8, vcc
	global_store_dword v[2:3], v0, off
	v_and_or_b32 v0, v5, s18, v4
	v_cmp_ne_u32_e32 vcc, 0, v0
	v_cndmask_b32_e64 v0, 0, 1, vcc
	v_lshrrev_b32_e32 v4, 8, v5
	v_bfe_u32 v8, v5, 20, 11
	v_and_or_b32 v4, v4, s17, v0
	v_sub_u32_e32 v9, 0x3f1, v8
	v_or_b32_e32 v0, 0x1000, v4
	v_med3_i32 v9, v9, 0, 13
	v_lshrrev_b32_e32 v11, v9, v0
	v_lshlrev_b32_e32 v9, v9, v11
	v_mul_f16_sdwa v1, v1, v12 dst_sel:DWORD dst_unused:UNUSED_PAD src0_sel:DWORD src1_sel:WORD_1
	v_cmp_ne_u32_e32 vcc, v9, v0
	v_fma_f16 v1, v12, v10, -v1
	v_cndmask_b32_e64 v0, 0, 1, vcc
	v_add_u32_e32 v8, 0xfffffc10, v8
	v_cvt_f32_f16_e32 v1, v1
	v_or_b32_e32 v0, v11, v0
	v_lshl_or_b32 v9, v8, 12, v4
	v_cmp_gt_i32_e32 vcc, 1, v8
	v_cndmask_b32_e32 v0, v9, v0, vcc
	v_and_b32_e32 v9, 7, v0
	v_cmp_lt_i32_e32 vcc, 5, v9
	v_cmp_eq_u32_e64 s[0:1], 3, v9
	v_lshrrev_b32_e32 v9, 2, v0
	v_cvt_f64_f32_e32 v[0:1], v1
	s_or_b64 vcc, s[0:1], vcc
	v_addc_co_u32_e32 v9, vcc, 0, v9, vcc
	v_mul_f64 v[0:1], v[0:1], s[14:15]
	v_cmp_gt_i32_e32 vcc, 31, v8
	v_cndmask_b32_e32 v9, v6, v9, vcc
	v_cmp_ne_u32_e32 vcc, 0, v4
	v_cndmask_b32_e64 v4, 0, 1, vcc
	v_lshl_or_b32 v4, v4, 9, v6
	v_cmp_eq_u32_e32 vcc, s16, v8
	v_cndmask_b32_e32 v4, v9, v4, vcc
	v_and_or_b32 v0, v1, s18, v0
	v_lshrrev_b32_e32 v5, 16, v5
	v_cmp_ne_u32_e32 vcc, 0, v0
	v_and_or_b32 v9, v5, s10, v4
	v_cndmask_b32_e64 v0, 0, 1, vcc
	v_lshrrev_b32_e32 v4, 8, v1
	v_bfe_u32 v5, v1, 20, 11
	v_and_or_b32 v0, v4, s17, v0
	v_sub_u32_e32 v8, 0x3f1, v5
	v_or_b32_e32 v4, 0x1000, v0
	v_med3_i32 v8, v8, 0, 13
	v_lshrrev_b32_e32 v10, v8, v4
	v_lshlrev_b32_e32 v8, v8, v10
	v_cmp_ne_u32_e32 vcc, v8, v4
	v_cndmask_b32_e64 v4, 0, 1, vcc
	v_add_u32_e32 v8, 0xfffffc10, v5
	v_or_b32_e32 v4, v10, v4
	v_lshl_or_b32 v5, v8, 12, v0
	v_cmp_gt_i32_e32 vcc, 1, v8
	v_cndmask_b32_e32 v4, v5, v4, vcc
	v_and_b32_e32 v5, 7, v4
	v_cmp_lt_i32_e32 vcc, 5, v5
	v_cmp_eq_u32_e64 s[0:1], 3, v5
	v_lshrrev_b32_e32 v4, 2, v4
	s_or_b64 vcc, s[0:1], vcc
	v_addc_co_u32_e32 v10, vcc, 0, v4, vcc
	ds_read2_b32 v[4:5], v7 offset0:79 offset1:156
	v_cmp_gt_i32_e32 vcc, 31, v8
	v_cndmask_b32_e32 v7, v6, v10, vcc
	v_cmp_ne_u32_e32 vcc, 0, v0
	v_cndmask_b32_e64 v0, 0, 1, vcc
	s_waitcnt lgkmcnt(0)
	v_lshrrev_b32_e32 v10, 16, v4
	s_waitcnt vmcnt(3)
	v_mul_f16_sdwa v11, v10, v13 dst_sel:DWORD dst_unused:UNUSED_PAD src0_sel:DWORD src1_sel:WORD_1
	v_fma_f16 v11, v4, v13, v11
	v_cvt_f32_f16_e32 v11, v11
	v_lshl_or_b32 v0, v0, 9, v6
	v_cmp_eq_u32_e32 vcc, s16, v8
	v_cndmask_b32_e32 v0, v7, v0, vcc
	v_cvt_f64_f32_e32 v[7:8], v11
	v_lshrrev_b32_e32 v1, 16, v1
	v_and_or_b32 v11, v1, s10, v0
	v_add_co_u32_e32 v2, vcc, s3, v2
	v_mul_f64 v[0:1], v[7:8], s[14:15]
	v_mov_b32_e32 v8, s2
	v_and_b32_e32 v9, 0xffff, v9
	v_addc_co_u32_e32 v3, vcc, v3, v8, vcc
	v_lshl_or_b32 v7, v11, 16, v9
	global_store_dword v[2:3], v7, off
	v_mul_f16_sdwa v4, v4, v13 dst_sel:DWORD dst_unused:UNUSED_PAD src0_sel:DWORD src1_sel:WORD_1
	v_and_or_b32 v0, v1, s18, v0
	v_cmp_ne_u32_e32 vcc, 0, v0
	v_cndmask_b32_e64 v0, 0, 1, vcc
	v_lshrrev_b32_e32 v7, 8, v1
	v_bfe_u32 v8, v1, 20, 11
	v_and_or_b32 v0, v7, s17, v0
	v_sub_u32_e32 v9, 0x3f1, v8
	v_or_b32_e32 v7, 0x1000, v0
	v_med3_i32 v9, v9, 0, 13
	v_lshrrev_b32_e32 v11, v9, v7
	v_lshlrev_b32_e32 v9, v9, v11
	v_cmp_ne_u32_e32 vcc, v9, v7
	v_fma_f16 v4, v13, v10, -v4
	v_cndmask_b32_e64 v7, 0, 1, vcc
	v_add_u32_e32 v9, 0xfffffc10, v8
	v_cvt_f32_f16_e32 v4, v4
	v_or_b32_e32 v7, v11, v7
	v_lshl_or_b32 v8, v9, 12, v0
	v_cmp_gt_i32_e32 vcc, 1, v9
	v_cndmask_b32_e32 v7, v8, v7, vcc
	v_and_b32_e32 v8, 7, v7
	v_cmp_lt_i32_e32 vcc, 5, v8
	v_cmp_eq_u32_e64 s[0:1], 3, v8
	v_lshrrev_b32_e32 v10, 2, v7
	v_cvt_f64_f32_e32 v[7:8], v4
	s_or_b64 vcc, s[0:1], vcc
	v_addc_co_u32_e32 v4, vcc, 0, v10, vcc
	v_mul_f64 v[7:8], v[7:8], s[14:15]
	v_cmp_gt_i32_e32 vcc, 31, v9
	v_cndmask_b32_e32 v4, v6, v4, vcc
	v_cmp_ne_u32_e32 vcc, 0, v0
	v_cndmask_b32_e64 v0, 0, 1, vcc
	v_lshl_or_b32 v0, v0, 9, v6
	v_cmp_eq_u32_e32 vcc, s16, v9
	v_cndmask_b32_e32 v0, v4, v0, vcc
	v_lshrrev_b32_e32 v1, 16, v1
	v_and_or_b32 v0, v1, s10, v0
	v_and_or_b32 v1, v8, s18, v7
	v_cmp_ne_u32_e32 vcc, 0, v1
	v_cndmask_b32_e64 v1, 0, 1, vcc
	v_lshrrev_b32_e32 v4, 8, v8
	v_bfe_u32 v7, v8, 20, 11
	v_and_or_b32 v1, v4, s17, v1
	v_sub_u32_e32 v9, 0x3f1, v7
	v_or_b32_e32 v4, 0x1000, v1
	v_med3_i32 v9, v9, 0, 13
	v_lshrrev_b32_e32 v10, v9, v4
	v_lshlrev_b32_e32 v9, v9, v10
	v_cmp_ne_u32_e32 vcc, v9, v4
	v_cndmask_b32_e64 v4, 0, 1, vcc
	v_add_u32_e32 v7, 0xfffffc10, v7
	v_or_b32_e32 v4, v10, v4
	v_lshl_or_b32 v9, v7, 12, v1
	v_cmp_gt_i32_e32 vcc, 1, v7
	v_cndmask_b32_e32 v4, v9, v4, vcc
	v_and_b32_e32 v9, 7, v4
	v_cmp_lt_i32_e32 vcc, 5, v9
	v_cmp_eq_u32_e64 s[0:1], 3, v9
	v_lshrrev_b32_e32 v4, 2, v4
	s_or_b64 vcc, s[0:1], vcc
	v_addc_co_u32_e32 v4, vcc, 0, v4, vcc
	v_cmp_gt_i32_e32 vcc, 31, v7
	v_cndmask_b32_e32 v4, v6, v4, vcc
	v_cmp_ne_u32_e32 vcc, 0, v1
	v_cndmask_b32_e64 v1, 0, 1, vcc
	v_lshl_or_b32 v1, v1, 9, v6
	v_cmp_eq_u32_e32 vcc, s16, v7
	v_cndmask_b32_e32 v1, v4, v1, vcc
	v_lshrrev_b32_e32 v4, 16, v8
	v_and_or_b32 v1, v4, s10, v1
	v_and_b32_e32 v0, 0xffff, v0
	v_lshl_or_b32 v4, v1, 16, v0
	v_mov_b32_e32 v1, s2
	v_add_co_u32_e32 v0, vcc, s3, v2
	v_addc_co_u32_e32 v1, vcc, v3, v1, vcc
	global_store_dword v[0:1], v4, off
	global_load_dword v4, v41, s[6:7] offset:3696
	v_lshrrev_b32_e32 v7, 16, v5
	s_waitcnt vmcnt(0)
	v_mul_f16_sdwa v2, v7, v4 dst_sel:DWORD dst_unused:UNUSED_PAD src0_sel:DWORD src1_sel:WORD_1
	v_fma_f16 v2, v5, v4, v2
	v_cvt_f32_f16_e32 v2, v2
	v_mul_f16_sdwa v5, v5, v4 dst_sel:DWORD dst_unused:UNUSED_PAD src0_sel:DWORD src1_sel:WORD_1
	v_fma_f16 v4, v4, v7, -v5
	v_cvt_f32_f16_e32 v4, v4
	v_cvt_f64_f32_e32 v[2:3], v2
	v_cvt_f64_f32_e32 v[4:5], v4
	v_mul_f64 v[2:3], v[2:3], s[14:15]
	v_mul_f64 v[4:5], v[4:5], s[14:15]
	v_and_or_b32 v2, v3, s18, v2
	v_cmp_ne_u32_e32 vcc, 0, v2
	v_cndmask_b32_e64 v2, 0, 1, vcc
	v_lshrrev_b32_e32 v8, 8, v3
	v_bfe_u32 v9, v3, 20, 11
	v_and_or_b32 v2, v8, s17, v2
	v_sub_u32_e32 v10, 0x3f1, v9
	v_or_b32_e32 v8, 0x1000, v2
	v_med3_i32 v10, v10, 0, 13
	v_lshrrev_b32_e32 v11, v10, v8
	v_lshlrev_b32_e32 v10, v10, v11
	v_cmp_ne_u32_e32 vcc, v10, v8
	v_cndmask_b32_e64 v8, 0, 1, vcc
	v_add_u32_e32 v9, 0xfffffc10, v9
	v_or_b32_e32 v8, v11, v8
	v_lshl_or_b32 v10, v9, 12, v2
	v_cmp_gt_i32_e32 vcc, 1, v9
	v_cndmask_b32_e32 v8, v10, v8, vcc
	v_and_b32_e32 v10, 7, v8
	v_cmp_lt_i32_e32 vcc, 5, v10
	v_cmp_eq_u32_e64 s[0:1], 3, v10
	v_lshrrev_b32_e32 v7, 2, v8
	s_or_b64 vcc, s[0:1], vcc
	v_addc_co_u32_e32 v7, vcc, 0, v7, vcc
	v_cmp_gt_i32_e32 vcc, 31, v9
	v_cndmask_b32_e32 v7, v6, v7, vcc
	v_cmp_ne_u32_e32 vcc, 0, v2
	v_cndmask_b32_e64 v2, 0, 1, vcc
	v_lshl_or_b32 v2, v2, 9, v6
	v_cmp_eq_u32_e32 vcc, s16, v9
	v_cndmask_b32_e32 v2, v7, v2, vcc
	v_lshrrev_b32_e32 v3, 16, v3
	v_and_or_b32 v2, v3, s10, v2
	v_and_or_b32 v3, v5, s18, v4
	v_cmp_ne_u32_e32 vcc, 0, v3
	v_cndmask_b32_e64 v3, 0, 1, vcc
	v_lshrrev_b32_e32 v4, 8, v5
	v_bfe_u32 v7, v5, 20, 11
	v_and_or_b32 v3, v4, s17, v3
	v_sub_u32_e32 v8, 0x3f1, v7
	v_or_b32_e32 v4, 0x1000, v3
	v_med3_i32 v8, v8, 0, 13
	v_lshrrev_b32_e32 v9, v8, v4
	v_lshlrev_b32_e32 v8, v8, v9
	v_cmp_ne_u32_e32 vcc, v8, v4
	v_cndmask_b32_e64 v4, 0, 1, vcc
	v_add_u32_e32 v7, 0xfffffc10, v7
	v_or_b32_e32 v4, v9, v4
	v_lshl_or_b32 v8, v7, 12, v3
	v_cmp_gt_i32_e32 vcc, 1, v7
	v_cndmask_b32_e32 v4, v8, v4, vcc
	v_and_b32_e32 v8, 7, v4
	v_cmp_lt_i32_e32 vcc, 5, v8
	v_cmp_eq_u32_e64 s[0:1], 3, v8
	v_lshrrev_b32_e32 v4, 2, v4
	s_or_b64 vcc, s[0:1], vcc
	v_addc_co_u32_e32 v4, vcc, 0, v4, vcc
	v_cmp_gt_i32_e32 vcc, 31, v7
	v_cndmask_b32_e32 v4, v6, v4, vcc
	v_cmp_ne_u32_e32 vcc, 0, v3
	v_cndmask_b32_e64 v3, 0, 1, vcc
	v_lshl_or_b32 v3, v3, 9, v6
	v_cmp_eq_u32_e32 vcc, s16, v7
	v_cndmask_b32_e32 v3, v4, v3, vcc
	v_lshrrev_b32_e32 v4, 16, v5
	v_and_or_b32 v3, v4, s10, v3
	v_and_b32_e32 v2, 0xffff, v2
	v_lshl_or_b32 v2, v3, 16, v2
	v_mov_b32_e32 v3, s2
	v_add_co_u32_e32 v0, vcc, s3, v0
	v_addc_co_u32_e32 v1, vcc, v1, v3, vcc
	global_store_dword v[0:1], v2, off
.LBB0_23:
	s_endpgm
	.section	.rodata,"a",@progbits
	.p2align	6, 0x0
	.amdhsa_kernel bluestein_single_fwd_len1001_dim1_half_op_CI_CI
		.amdhsa_group_segment_fixed_size 8008
		.amdhsa_private_segment_fixed_size 0
		.amdhsa_kernarg_size 104
		.amdhsa_user_sgpr_count 6
		.amdhsa_user_sgpr_private_segment_buffer 1
		.amdhsa_user_sgpr_dispatch_ptr 0
		.amdhsa_user_sgpr_queue_ptr 0
		.amdhsa_user_sgpr_kernarg_segment_ptr 1
		.amdhsa_user_sgpr_dispatch_id 0
		.amdhsa_user_sgpr_flat_scratch_init 0
		.amdhsa_user_sgpr_private_segment_size 0
		.amdhsa_uses_dynamic_stack 0
		.amdhsa_system_sgpr_private_segment_wavefront_offset 0
		.amdhsa_system_sgpr_workgroup_id_x 1
		.amdhsa_system_sgpr_workgroup_id_y 0
		.amdhsa_system_sgpr_workgroup_id_z 0
		.amdhsa_system_sgpr_workgroup_info 0
		.amdhsa_system_vgpr_workitem_id 0
		.amdhsa_next_free_vgpr 215
		.amdhsa_next_free_sgpr 25
		.amdhsa_reserve_vcc 1
		.amdhsa_reserve_flat_scratch 0
		.amdhsa_float_round_mode_32 0
		.amdhsa_float_round_mode_16_64 0
		.amdhsa_float_denorm_mode_32 3
		.amdhsa_float_denorm_mode_16_64 3
		.amdhsa_dx10_clamp 1
		.amdhsa_ieee_mode 1
		.amdhsa_fp16_overflow 0
		.amdhsa_exception_fp_ieee_invalid_op 0
		.amdhsa_exception_fp_denorm_src 0
		.amdhsa_exception_fp_ieee_div_zero 0
		.amdhsa_exception_fp_ieee_overflow 0
		.amdhsa_exception_fp_ieee_underflow 0
		.amdhsa_exception_fp_ieee_inexact 0
		.amdhsa_exception_int_div_zero 0
	.end_amdhsa_kernel
	.text
.Lfunc_end0:
	.size	bluestein_single_fwd_len1001_dim1_half_op_CI_CI, .Lfunc_end0-bluestein_single_fwd_len1001_dim1_half_op_CI_CI
                                        ; -- End function
	.section	.AMDGPU.csdata,"",@progbits
; Kernel info:
; codeLenInByte = 24296
; NumSgprs: 29
; NumVgprs: 215
; ScratchSize: 0
; MemoryBound: 0
; FloatMode: 240
; IeeeMode: 1
; LDSByteSize: 8008 bytes/workgroup (compile time only)
; SGPRBlocks: 3
; VGPRBlocks: 53
; NumSGPRsForWavesPerEU: 29
; NumVGPRsForWavesPerEU: 215
; Occupancy: 1
; WaveLimiterHint : 1
; COMPUTE_PGM_RSRC2:SCRATCH_EN: 0
; COMPUTE_PGM_RSRC2:USER_SGPR: 6
; COMPUTE_PGM_RSRC2:TRAP_HANDLER: 0
; COMPUTE_PGM_RSRC2:TGID_X_EN: 1
; COMPUTE_PGM_RSRC2:TGID_Y_EN: 0
; COMPUTE_PGM_RSRC2:TGID_Z_EN: 0
; COMPUTE_PGM_RSRC2:TIDIG_COMP_CNT: 0
	.type	__hip_cuid_47806a46c9ca014,@object ; @__hip_cuid_47806a46c9ca014
	.section	.bss,"aw",@nobits
	.globl	__hip_cuid_47806a46c9ca014
__hip_cuid_47806a46c9ca014:
	.byte	0                               ; 0x0
	.size	__hip_cuid_47806a46c9ca014, 1

	.ident	"AMD clang version 19.0.0git (https://github.com/RadeonOpenCompute/llvm-project roc-6.4.0 25133 c7fe45cf4b819c5991fe208aaa96edf142730f1d)"
	.section	".note.GNU-stack","",@progbits
	.addrsig
	.addrsig_sym __hip_cuid_47806a46c9ca014
	.amdgpu_metadata
---
amdhsa.kernels:
  - .args:
      - .actual_access:  read_only
        .address_space:  global
        .offset:         0
        .size:           8
        .value_kind:     global_buffer
      - .actual_access:  read_only
        .address_space:  global
        .offset:         8
        .size:           8
        .value_kind:     global_buffer
      - .actual_access:  read_only
        .address_space:  global
        .offset:         16
        .size:           8
        .value_kind:     global_buffer
      - .actual_access:  read_only
        .address_space:  global
        .offset:         24
        .size:           8
        .value_kind:     global_buffer
      - .actual_access:  read_only
        .address_space:  global
        .offset:         32
        .size:           8
        .value_kind:     global_buffer
      - .offset:         40
        .size:           8
        .value_kind:     by_value
      - .address_space:  global
        .offset:         48
        .size:           8
        .value_kind:     global_buffer
      - .address_space:  global
        .offset:         56
        .size:           8
        .value_kind:     global_buffer
      - .address_space:  global
        .offset:         64
        .size:           8
        .value_kind:     global_buffer
      - .address_space:  global
        .offset:         72
        .size:           8
        .value_kind:     global_buffer
      - .offset:         80
        .size:           4
        .value_kind:     by_value
      - .address_space:  global
        .offset:         88
        .size:           8
        .value_kind:     global_buffer
      - .address_space:  global
        .offset:         96
        .size:           8
        .value_kind:     global_buffer
    .group_segment_fixed_size: 8008
    .kernarg_segment_align: 8
    .kernarg_segment_size: 104
    .language:       OpenCL C
    .language_version:
      - 2
      - 0
    .max_flat_workgroup_size: 182
    .name:           bluestein_single_fwd_len1001_dim1_half_op_CI_CI
    .private_segment_fixed_size: 0
    .sgpr_count:     29
    .sgpr_spill_count: 0
    .symbol:         bluestein_single_fwd_len1001_dim1_half_op_CI_CI.kd
    .uniform_work_group_size: 1
    .uses_dynamic_stack: false
    .vgpr_count:     215
    .vgpr_spill_count: 0
    .wavefront_size: 64
amdhsa.target:   amdgcn-amd-amdhsa--gfx906
amdhsa.version:
  - 1
  - 2
...

	.end_amdgpu_metadata
